;; amdgpu-corpus repo=triton-lang/triton kind=triton arch=gfx1201 opt=O3 lang=triton
	.amdgcn_target "amdgcn-amd-amdhsa--gfx1201"
	.amdhsa_code_object_version 5
	.text
	.globl	matmul_kernel                   ; -- Begin function matmul_kernel
	.p2align	8
	.type	matmul_kernel,@function
matmul_kernel:                          ; @matmul_kernel
.Lfunc_begin0:
	.file	1 "/root/src/amdgpu-assembly/repos/triton-lang__triton-aot" "matmul.py"
	.loc	1 7 0                           ; matmul.py:7:0
	.cfi_sections .debug_frame
	.cfi_startproc
; %bb.0:
	s_clause 0x1
	s_load_b128 s[36:39], s[0:1], 0x10
	s_load_b32 s17, s[0:1], 0x20
.Ltmp0:
	.loc	1 16 22 prologue_end            ; matmul.py:16:22
	s_abs_i32 s2, ttmp9
	.loc	1 31 20                         ; matmul.py:31:20
	s_bfe_u32 s42, ttmp8, 0x50019
	v_dual_mov_b32 v169, 0 :: v_dual_and_b32 v6, 31, v0
	v_dual_mov_b32 v64, 0 :: v_dual_mov_b32 v65, 0
	v_dual_mov_b32 v66, 0 :: v_dual_mov_b32 v67, 0
	;; [unrolled: 1-line block ×7, first 2 shown]
.Ltmp1:
	.file	2 "/root/.local/lib/python3.13/site-packages/triton/language" "standard.py"
	.loc	2 43 17                         ; standard.py:43:17 @[ matmul.py:14:27 ]
	s_wait_kmcnt 0x0
	s_add_co_i32 s3, s39, 0x7f
.Ltmp2:
	.loc	2 43 17 is_stmt 0               ; standard.py:43:17 @[ matmul.py:13:27 ]
	s_add_co_i32 s6, s38, 0xff
.Ltmp3:
	.loc	2 43 30                         ; standard.py:43:30 @[ matmul.py:14:27 ]
	s_ashr_i32 s4, s3, 31
.Ltmp4:
	.loc	2 43 30                         ; standard.py:43:30 @[ matmul.py:13:27 ]
	s_ashr_i32 s8, s6, 31
.Ltmp5:
	.loc	2 43 30                         ; standard.py:43:30 @[ matmul.py:14:27 ]
	s_lshr_b32 s4, s4, 25
.Ltmp6:
	.loc	2 43 30                         ; standard.py:43:30 @[ matmul.py:13:27 ]
	s_lshr_b32 s8, s8, 24
.Ltmp7:
	.loc	2 43 30                         ; standard.py:43:30 @[ matmul.py:14:27 ]
	s_add_co_i32 s3, s3, s4
.Ltmp8:
	.loc	2 43 30                         ; standard.py:43:30 @[ matmul.py:13:27 ]
	s_add_co_i32 s6, s6, s8
.Ltmp9:
	.loc	2 43 30                         ; standard.py:43:30 @[ matmul.py:14:27 ]
	s_ashr_i32 s3, s3, 7
.Ltmp10:
	.loc	2 43 30                         ; standard.py:43:30 @[ matmul.py:13:27 ]
	s_ashr_i32 s6, s6, 8
.Ltmp11:
	.loc	1 15 38 is_stmt 1               ; matmul.py:15:38
	s_lshl_b32 s3, s3, 3
	v_dual_mov_b32 v78, 0 :: v_dual_mov_b32 v79, 0
	.loc	1 16 22                         ; matmul.py:16:22
	s_abs_i32 s4, s3
	v_dual_mov_b32 v80, 0 :: v_dual_mov_b32 v81, 0
	s_cvt_f32_u32 s5, s4
	s_sub_co_i32 s7, 0, s4
	v_dual_mov_b32 v82, 0 :: v_dual_mov_b32 v83, 0
	s_delay_alu instid0(SALU_CYCLE_1)
	v_rcp_iflag_f32_e32 v1, s5
	v_dual_mov_b32 v84, 0 :: v_dual_mov_b32 v85, 0
	v_dual_mov_b32 v86, 0 :: v_dual_mov_b32 v87, 0
	;; [unrolled: 1-line block ×5, first 2 shown]
	s_delay_alu instid0(TRANS32_DEP_1)
	v_readfirstlane_b32 s5, v1
	v_dual_mov_b32 v94, 0 :: v_dual_mov_b32 v95, 0
	v_dual_mov_b32 v128, 0 :: v_dual_mov_b32 v129, 0
	s_mul_f32 s5, s5, 0x4f7ffffe
	v_dual_mov_b32 v130, 0 :: v_dual_mov_b32 v131, 0
	v_dual_mov_b32 v132, 0 :: v_dual_mov_b32 v133, 0
	s_wait_alu depctr_sa_sdst(0)
	s_cvt_u32_f32 s5, s5
	v_dual_mov_b32 v134, 0 :: v_dual_mov_b32 v135, 0
	v_dual_mov_b32 v136, 0 :: v_dual_mov_b32 v137, 0
	s_wait_alu depctr_sa_sdst(0)
	s_mul_i32 s7, s7, s5
	v_dual_mov_b32 v138, 0 :: v_dual_mov_b32 v139, 0
	s_mul_hi_u32 s7, s5, s7
	v_dual_mov_b32 v140, 0 :: v_dual_mov_b32 v141, 0
	s_add_co_i32 s5, s5, s7
	s_xor_b32 s7, ttmp9, s3
	s_wait_alu depctr_sa_sdst(0)
	s_mul_hi_u32 s5, s2, s5
	s_ashr_i32 s7, s7, 31
	s_wait_alu depctr_sa_sdst(0)
	s_mul_i32 s8, s5, s4
	v_dual_mov_b32 v142, 0 :: v_dual_mov_b32 v143, 0
	s_sub_co_i32 s2, s2, s8
	s_add_co_i32 s8, s5, 1
	s_sub_co_i32 s9, s2, s4
	s_cmp_ge_u32 s2, s4
	v_dual_mov_b32 v144, 0 :: v_dual_mov_b32 v145, 0
	s_cselect_b32 s5, s8, s5
	s_cselect_b32 s2, s9, s2
	s_wait_alu depctr_sa_sdst(0)
	s_add_co_i32 s8, s5, 1
	s_cmp_ge_u32 s2, s4
	v_dual_mov_b32 v146, 0 :: v_dual_mov_b32 v147, 0
	s_cselect_b32 s2, s8, s5
	v_dual_mov_b32 v148, 0 :: v_dual_mov_b32 v149, 0
	s_xor_b32 s2, s2, s7
	v_dual_mov_b32 v150, 0 :: v_dual_mov_b32 v151, 0
	s_sub_co_i32 s2, s2, s7
	v_dual_mov_b32 v152, 0 :: v_dual_mov_b32 v153, 0
	.loc	1 17 29                         ; matmul.py:17:29
	s_lshl_b32 s4, s2, 3
	.loc	1 19 34                         ; matmul.py:19:34
	s_mul_i32 s2, s2, s3
	.loc	1 18 35                         ; matmul.py:18:35
	s_wait_alu depctr_sa_sdst(0)
	s_sub_co_i32 s5, s6, s4
	.loc	1 19 34                         ; matmul.py:19:34
	s_sub_co_i32 s9, ttmp9, s2
	.loc	1 18 48                         ; matmul.py:18:48
	s_wait_alu depctr_sa_sdst(0)
	s_min_i32 s5, s5, 8
	.loc	1 20 40                         ; matmul.py:20:40
	s_abs_i32 s3, s9
	s_wait_alu depctr_sa_sdst(0)
	s_abs_i32 s6, s5
	v_dual_mov_b32 v154, 0 :: v_dual_mov_b32 v155, 0
	s_cvt_f32_u32 s7, s6
	s_sub_co_i32 s8, 0, s6
	v_dual_mov_b32 v156, 0 :: v_dual_mov_b32 v157, 0
	s_delay_alu instid0(SALU_CYCLE_1)
	v_rcp_iflag_f32_e32 v1, s7
	v_dual_mov_b32 v158, 0 :: v_dual_mov_b32 v159, 0
	v_dual_mov_b32 v160, 0 :: v_dual_mov_b32 v161, 0
	;; [unrolled: 1-line block ×5, first 2 shown]
	s_delay_alu instid0(TRANS32_DEP_1)
	v_readfirstlane_b32 s7, v1
	v_dual_mov_b32 v171, 0 :: v_dual_and_b32 v96, 15, v0
	v_dual_mov_b32 v168, 0 :: v_dual_mov_b32 v173, 0
	s_mul_f32 s7, s7, 0x4f7ffffe
	v_dual_mov_b32 v170, 0 :: v_dual_mov_b32 v175, 0
	v_dual_mov_b32 v172, 0 :: v_dual_mov_b32 v177, 0
	s_wait_alu depctr_sa_sdst(0)
	s_cvt_u32_f32 s7, s7
	v_dual_mov_b32 v174, 0 :: v_dual_mov_b32 v179, 0
	v_dual_mov_b32 v176, 0 :: v_dual_mov_b32 v181, 0
	s_wait_alu depctr_sa_sdst(0)
	s_mul_i32 s8, s8, s7
	v_dual_mov_b32 v178, 0 :: v_dual_mov_b32 v183, 0
	s_mul_hi_u32 s2, s7, s8
	v_dual_mov_b32 v180, 0 :: v_dual_mov_b32 v185, 0
	s_add_co_i32 s7, s7, s2
	v_dual_mov_b32 v182, 0 :: v_dual_mov_b32 v187, 0
	s_wait_alu depctr_sa_sdst(0)
	s_mul_hi_u32 s2, s3, s7
	s_xor_b32 s7, s9, s5
	s_mul_i32 s8, s2, s6
	s_wait_alu depctr_sa_sdst(0)
	s_ashr_i32 s7, s7, 31
	s_sub_co_i32 s3, s3, s8
	s_add_co_i32 s8, s2, 1
	s_sub_co_i32 s10, s3, s6
	s_cmp_ge_u32 s3, s6
	v_dual_mov_b32 v184, 0 :: v_dual_mov_b32 v189, 0
	s_cselect_b32 s2, s8, s2
	s_cselect_b32 s3, s10, s3
	s_add_co_i32 s8, s2, 1
	s_cmp_ge_u32 s3, s6
	v_dual_mov_b32 v186, 0 :: v_dual_mov_b32 v191, 0
	s_cselect_b32 s2, s8, s2
	.loc	1 22 51                         ; matmul.py:22:51
	s_lshl_b32 s3, s42, 5
	.loc	1 20 40                         ; matmul.py:20:40
	s_wait_alu depctr_sa_sdst(0)
	s_xor_b32 s6, s2, s7
	.loc	1 22 51                         ; matmul.py:22:51
	v_or_b32_e32 v3, s3, v6
	.loc	1 20 40                         ; matmul.py:20:40
	s_wait_alu depctr_sa_sdst(0)
	s_sub_co_i32 s6, s6, s7
	.loc	1 22 51                         ; matmul.py:22:51
	s_and_b32 s13, s3, 0xc0
	.loc	1 19 54                         ; matmul.py:19:54
	s_wait_alu depctr_sa_sdst(0)
	s_mul_i32 s5, s6, s5
	v_dual_mov_b32 v188, 0 :: v_dual_mov_b32 v193, 0
	s_wait_alu depctr_sa_sdst(0)
	s_sub_co_i32 s5, s9, s5
	v_dual_mov_b32 v190, 0 :: v_dual_mov_b32 v195, 0
	.loc	1 19 27 is_stmt 0               ; matmul.py:19:27
	s_wait_alu depctr_sa_sdst(0)
	s_add_co_i32 s5, s5, s4
	v_dual_mov_b32 v192, 0 :: v_dual_mov_b32 v197, 0
	v_dual_mov_b32 v194, 0 :: v_dual_mov_b32 v199, 0
	;; [unrolled: 1-line block ×13, first 2 shown]
	v_mov_b32_e32 v218, 0
	v_mov_b32_e32 v220, 0
	;; [unrolled: 1-line block ×4, first 2 shown]
.Ltmp12:
	.loc	2 43 17 is_stmt 1               ; standard.py:43:17 @[ matmul.py:29:33 ]
	s_add_co_i32 s2, s17, 31
.Ltmp13:
	.loc	1 22 51                         ; matmul.py:22:51
	s_lshr_b32 s14, s13, 2
	.loc	1 23 23                         ; matmul.py:23:23
	s_lshl_b32 s15, s6, 7
	.loc	1 22 23                         ; matmul.py:22:23
	s_wait_alu depctr_sa_sdst(0)
	s_lshl_b32 s16, s5, 8
	.loc	1 29 22                         ; matmul.py:29:22
	s_cmp_lt_i32 s2, 32
	s_cbranch_scc1 .LBB0_100
; %bb.1:                                ; %.lr.ph
	.loc	1 22 68                         ; matmul.py:22:68
	s_abs_i32 s40, s38
	.loc	1 23 68                         ; matmul.py:23:68
	s_abs_i32 s41, s39
	.loc	1 22 68                         ; matmul.py:22:68
	s_cvt_f32_u32 s5, s40
	.loc	1 23 68                         ; matmul.py:23:68
	s_cvt_f32_u32 s4, s41
	s_load_b128 s[8:11], s[0:1], 0x24
	.loc	1 26 29                         ; matmul.py:26:29
	s_bfe_u32 s18, s42, 0x10002
	.loc	1 22 68                         ; matmul.py:22:68
	v_rcp_iflag_f32_e32 v2, s5
	.loc	1 23 68                         ; matmul.py:23:68
	v_rcp_iflag_f32_e32 v1, s4
	.loc	1 22 51                         ; matmul.py:22:51
	s_and_b32 s42, s42, 7
	.loc	1 22 68 is_stmt 0               ; matmul.py:22:68
	s_sub_co_i32 s45, 0, s40
.Ltmp14:
	.loc	2 43 30 is_stmt 1               ; standard.py:43:30 @[ matmul.py:29:33 ]
	s_ashr_i32 s4, s2, 31
.Ltmp15:
	.loc	1 26 29                         ; matmul.py:26:29
	s_or_b32 s19, s18, 2
.Ltmp16:
	.loc	2 43 30                         ; standard.py:43:30 @[ matmul.py:29:33 ]
	s_wait_alu depctr_sa_sdst(0)
	s_lshr_b32 s4, s4, 27
.Ltmp17:
	.loc	1 26 29                         ; matmul.py:26:29
	s_or_b32 s20, s18, 4
.Ltmp18:
	.loc	2 43 30                         ; standard.py:43:30 @[ matmul.py:29:33 ]
	s_wait_alu depctr_sa_sdst(0)
	s_add_co_i32 s2, s2, s4
.Ltmp19:
	.loc	1 26 29                         ; matmul.py:26:29
	s_or_b32 s21, s18, 6
	.loc	1 22 68                         ; matmul.py:22:68
	v_readfirstlane_b32 s44, v2
	.loc	1 23 68                         ; matmul.py:23:68
	v_readfirstlane_b32 s43, v1
	.loc	1 26 29                         ; matmul.py:26:29
	s_or_b32 s22, s18, 8
	s_or_b32 s23, s18, 10
	;; [unrolled: 1-line block ×3, first 2 shown]
	.loc	1 22 68                         ; matmul.py:22:68
	s_mul_f32 s44, s44, 0x4f7ffffe
	.loc	1 23 68                         ; matmul.py:23:68
	s_mul_f32 s43, s43, 0x4f7ffffe
	.loc	1 26 29                         ; matmul.py:26:29
	s_or_b32 s25, s18, 14
	s_or_b32 s26, s18, 16
	.loc	1 22 68                         ; matmul.py:22:68
	s_cvt_u32_f32 s44, s44
	.loc	1 23 68                         ; matmul.py:23:68
	s_cvt_u32_f32 s60, s43
	.loc	1 22 51                         ; matmul.py:22:51
	s_or_b32 s43, s16, s42
	.loc	1 22 68 is_stmt 0               ; matmul.py:22:68
	s_ashr_i32 s42, s16, 31
	s_mul_i32 s45, s45, s44
	s_add_co_i32 s43, s43, s42
	s_mul_hi_u32 s45, s44, s45
	s_add_co_i32 s46, s43, 0xf8
	s_add_co_i32 s44, s44, s45
	s_xor_b32 s46, s46, s42
	.loc	1 23 68 is_stmt 1               ; matmul.py:23:68
	s_sub_co_i32 s45, 0, s41
	.loc	1 22 68                         ; matmul.py:22:68
	s_mul_hi_u32 s47, s46, s44
	.loc	1 23 68                         ; matmul.py:23:68
	s_mul_i32 s45, s45, s60
	.loc	1 22 68                         ; matmul.py:22:68
	s_mul_i32 s47, s47, s40
	.loc	1 23 68                         ; matmul.py:23:68
	s_mul_hi_u32 s45, s60, s45
	.loc	1 22 68                         ; matmul.py:22:68
	s_sub_co_i32 s46, s46, s47
	.loc	1 26 29                         ; matmul.py:26:29
	s_or_b32 s27, s18, 18
	s_or_b32 s28, s18, 20
	;; [unrolled: 1-line block ×7, first 2 shown]
.Ltmp20:
	.loc	2 43 30                         ; standard.py:43:30 @[ matmul.py:29:33 ]
	s_wait_alu depctr_sa_sdst(0)
	s_ashr_i32 s35, s2, 5
	s_load_b128 s[4:7], s[0:1], 0x0
.Ltmp21:
	.loc	1 34 33                         ; matmul.py:34:33
	s_wait_kmcnt 0x0
	s_lshl_b32 s12, s10, 5
	.loc	1 33 33                         ; matmul.py:33:33
	s_lshl_b32 s2, s9, 5
	.loc	1 23 68                         ; matmul.py:23:68
	s_ashr_i32 s51, s15, 31
	s_add_co_i32 s60, s60, s45
	.loc	1 22 68                         ; matmul.py:22:68
	s_sub_co_i32 s45, s46, s40
	s_cmp_ge_u32 s46, s40
	.loc	1 23 38                         ; matmul.py:23:38
	v_and_or_b32 v1, 0x7f, v3, s15
	.loc	1 22 68                         ; matmul.py:22:68
	s_cselect_b32 s45, s45, s46
	v_lshlrev_b32_e32 v2, 1, v3
	s_sub_co_i32 s46, s45, s40
	s_cmp_ge_u32 s45, s40
	.loc	1 23 68                         ; matmul.py:23:68
	v_add_nc_u32_e32 v1, s51, v1
	.loc	1 22 68                         ; matmul.py:22:68
	s_cselect_b32 s45, s46, s45
	s_add_co_i32 s46, s43, 0xf0
	s_xor_b32 s45, s45, s42
	s_xor_b32 s46, s46, s42
	s_sub_co_i32 s57, s45, s42
	s_mul_hi_u32 s47, s46, s44
	.loc	1 23 68                         ; matmul.py:23:68
	v_xor_b32_e32 v1, s51, v1
	.loc	1 22 68                         ; matmul.py:22:68
	s_mul_i32 s47, s47, s40
	v_and_b32_e32 v7, 0x1fe, v2
	s_sub_co_i32 s46, s46, s47
	v_lshlrev_b32_e32 v4, 3, v0
	s_sub_co_i32 s45, s46, s40
	s_cmp_ge_u32 s46, s40
	s_clause 0x3                            ; 16-byte Folded Spill
	scratch_store_b32 off, v7, off offset:4
	scratch_store_b32 off, v3, off offset:140
	scratch_store_b32 off, v6, off
	scratch_store_b32 off, v96, off offset:136
	s_cselect_b32 s45, s45, s46
	.loc	1 23 68                         ; matmul.py:23:68
	v_mul_hi_u32 v3, v1, s60
	.loc	1 22 68                         ; matmul.py:22:68
	s_sub_co_i32 s46, s45, s40
	s_cmp_ge_u32 s45, s40
	v_and_b32_e32 v5, 16, v0
	s_cselect_b32 s45, s46, s45
	s_add_co_i32 s46, s43, 0xe8
	s_xor_b32 s45, s45, s42
	s_xor_b32 s46, s46, s42
	s_sub_co_i32 s59, s45, s42
	s_mul_hi_u32 s47, s46, s44
	.loc	1 23 68                         ; matmul.py:23:68
	v_mul_lo_u32 v0, v3, s41
	.loc	1 22 68                         ; matmul.py:22:68
	s_mul_i32 s47, s47, s40
	v_and_b32_e32 v2, 48, v4
	s_sub_co_i32 s46, s46, s47
	v_lshlrev_b32_e32 v81, 7, v5
	s_sub_co_i32 s45, s46, s40
	s_cmp_ge_u32 s46, s40
	v_xor_b32_e32 v82, v2, v5
	s_cselect_b32 s45, s45, s46
	.loc	1 23 68                         ; matmul.py:23:68
	v_sub_nc_u32_e32 v1, v1, v0
	.loc	1 22 68                         ; matmul.py:22:68
	s_sub_co_i32 s46, s45, s40
	s_cmp_ge_u32 s45, s40
	.loc	1 25 71                         ; matmul.py:25:71
	v_mul_lo_u32 v0, s9, v6
	.loc	1 22 68                         ; matmul.py:22:68
	s_cselect_b32 s45, s46, s45
	s_add_co_i32 s46, s43, 0xe0
	s_xor_b32 s45, s45, s42
	s_xor_b32 s46, s46, s42
	s_sub_co_i32 s58, s45, s42
	s_mul_hi_u32 s47, s46, s44
	.loc	1 23 68                         ; matmul.py:23:68
	v_subrev_nc_u32_e32 v3, s41, v1
	.loc	1 22 68                         ; matmul.py:22:68
	s_mul_i32 s47, s47, s40
	.loc	1 23 68                         ; matmul.py:23:68
	v_cmp_le_u32_e32 vcc_lo, s41, v1
	.loc	1 22 68                         ; matmul.py:22:68
	s_sub_co_i32 s46, s46, s47
	v_lshlrev_b32_e32 v80, 6, v96
	s_sub_co_i32 s45, s46, s40
	s_cmp_ge_u32 s46, s40
	.loc	1 23 68                         ; matmul.py:23:68
	v_cndmask_b32_e32 v3, v1, v3, vcc_lo
	.loc	1 22 68                         ; matmul.py:22:68
	s_cselect_b32 s45, s45, s46
	.loc	1 25 53                         ; matmul.py:25:53
	v_mad_co_u64_u32 v[1:2], null, s57, s8, v[0:1]
	.loc	1 22 68                         ; matmul.py:22:68
	s_sub_co_i32 s46, s45, s40
	s_cmp_ge_u32 s45, s40
	.loc	1 23 68                         ; matmul.py:23:68
	v_subrev_nc_u32_e32 v4, s41, v3
	.loc	1 22 68                         ; matmul.py:22:68
	s_cselect_b32 s45, s46, s45
	s_add_co_i32 s46, s43, 0xd8
	s_xor_b32 s45, s45, s42
	s_xor_b32 s46, s46, s42
	s_sub_co_i32 s45, s45, s42
	s_mul_hi_u32 s47, s46, s44
	.loc	1 23 68                         ; matmul.py:23:68
	v_cmp_le_u32_e32 vcc_lo, s41, v3
	.loc	1 22 68                         ; matmul.py:22:68
	s_mul_i32 s47, s47, s40
	v_xor_b32_e32 v84, s14, v7
	s_sub_co_i32 s46, s46, s47
	.loc	1 25 53                         ; matmul.py:25:53
	v_mad_co_u64_u32 v[6:7], null, s58, s8, v[0:1]
	.loc	1 22 68                         ; matmul.py:22:68
	s_sub_co_i32 s47, s46, s40
	s_cmp_ge_u32 s46, s40
	.loc	1 23 68                         ; matmul.py:23:68
	s_wait_alu depctr_va_vcc(0)
	v_cndmask_b32_e32 v2, v3, v4, vcc_lo
	.loc	1 22 68                         ; matmul.py:22:68
	s_cselect_b32 s46, s47, s46
	.loc	1 25 53                         ; matmul.py:25:53
	v_mad_co_u64_u32 v[3:4], null, s59, s8, v[0:1]
	.loc	1 22 68                         ; matmul.py:22:68
	s_sub_co_i32 s47, s46, s40
	s_cmp_ge_u32 s46, s40
	.loc	1 23 68                         ; matmul.py:23:68
	v_xor_b32_e32 v4, s51, v2
	.loc	1 22 68                         ; matmul.py:22:68
	s_cselect_b32 s46, s47, s46
	s_add_co_i32 s47, s43, 0xd0
	s_xor_b32 s46, s46, s42
	s_xor_b32 s47, s47, s42
	s_sub_co_i32 s46, s46, s42
	s_mul_hi_u32 s48, s47, s44
	.loc	1 23 68                         ; matmul.py:23:68
	v_subrev_nc_u32_e32 v5, s51, v4
	.loc	1 22 68                         ; matmul.py:22:68
	s_mul_i32 s48, s48, s40
	.loc	1 25 53                         ; matmul.py:25:53
	v_mad_co_u64_u32 v[26:27], null, s45, s8, v[0:1]
	.loc	1 22 68                         ; matmul.py:22:68
	s_sub_co_i32 s47, s47, s48
	.loc	1 26 71                         ; matmul.py:26:71
	v_mul_lo_u32 v5, v5, s11
	.loc	1 22 68                         ; matmul.py:22:68
	s_sub_co_i32 s48, s47, s40
	s_cmp_ge_u32 s47, s40
	.loc	1 25 22                         ; matmul.py:25:22
	v_ashrrev_i32_e32 v2, 31, v1
	.loc	1 22 68                         ; matmul.py:22:68
	s_cselect_b32 s47, s48, s47
	.loc	1 25 22                         ; matmul.py:25:22
	v_ashrrev_i32_e32 v4, 31, v3
	.loc	1 22 68                         ; matmul.py:22:68
	s_sub_co_i32 s48, s47, s40
	s_cmp_ge_u32 s47, s40
	.loc	1 29 22                         ; matmul.py:29:22
	v_mad_co_u64_u32 v[10:11], null, s10, s34, v[5:6]
	.loc	1 22 68                         ; matmul.py:22:68
	s_cselect_b32 s47, s48, s47
	s_add_co_i32 s48, s43, 0xc8
	s_xor_b32 s47, s47, s42
	s_xor_b32 s48, s48, s42
	s_sub_co_i32 s47, s47, s42
	s_mul_hi_u32 s49, s48, s44
	.loc	1 29 22                         ; matmul.py:29:22
	v_mad_co_u64_u32 v[12:13], null, s10, s33, v[5:6]
	.loc	1 22 68                         ; matmul.py:22:68
	s_mul_i32 s49, s49, s40
	.loc	1 29 22                         ; matmul.py:29:22
	v_mad_co_u64_u32 v[14:15], null, s10, s31, v[5:6]
	.loc	1 22 68                         ; matmul.py:22:68
	s_sub_co_i32 s48, s48, s49
	.loc	1 29 22                         ; matmul.py:29:22
	v_ashrrev_i32_e32 v11, 31, v10
	.loc	1 22 68                         ; matmul.py:22:68
	s_sub_co_i32 s49, s48, s40
	s_cmp_ge_u32 s48, s40
	.loc	1 26 52                         ; matmul.py:26:52
	v_mad_co_u64_u32 v[8:9], null, s10, s18, v[5:6]
	.loc	1 22 68                         ; matmul.py:22:68
	s_cselect_b32 s48, s49, s48
	.loc	1 29 22                         ; matmul.py:29:22
	v_mad_co_u64_u32 v[16:17], null, s10, s30, v[5:6]
	.loc	1 22 68                         ; matmul.py:22:68
	s_sub_co_i32 s49, s48, s40
	s_cmp_ge_u32 s48, s40
	.loc	1 29 22                         ; matmul.py:29:22
	v_lshlrev_b64_e32 v[10:11], 1, v[10:11]
	.loc	1 22 68                         ; matmul.py:22:68
	s_cselect_b32 s48, s49, s48
	s_add_co_i32 s49, s43, 0xc0
	s_xor_b32 s48, s48, s42
	s_xor_b32 s49, s49, s42
	s_sub_co_i32 s48, s48, s42
	s_mul_hi_u32 s50, s49, s44
	.loc	1 29 22                         ; matmul.py:29:22
	v_ashrrev_i32_e32 v13, 31, v12
	.loc	1 22 68                         ; matmul.py:22:68
	s_wait_alu depctr_sa_sdst(0)
	s_mul_i32 s50, s50, s40
	.loc	1 29 22                         ; matmul.py:29:22
	v_ashrrev_i32_e32 v15, 31, v14
	.loc	1 22 68                         ; matmul.py:22:68
	s_wait_alu depctr_sa_sdst(0)
	s_sub_co_i32 s49, s49, s50
	.loc	1 26 22                         ; matmul.py:26:22
	v_ashrrev_i32_e32 v9, 31, v8
	.loc	1 22 68                         ; matmul.py:22:68
	s_sub_co_i32 s50, s49, s40
	s_cmp_ge_u32 s49, s40
	.loc	1 29 22                         ; matmul.py:29:22
	v_lshlrev_b64_e32 v[14:15], 1, v[14:15]
	.loc	1 22 68                         ; matmul.py:22:68
	s_wait_alu depctr_sa_sdst(0)
	s_cselect_b32 s49, s50, s49
	scratch_store_b64 off, v[10:11], off offset:8 ; 8-byte Folded Spill
	s_sub_co_i32 s50, s49, s40
	s_cmp_ge_u32 s49, s40
	.loc	1 29 22                         ; matmul.py:29:22
	v_lshlrev_b64_e32 v[10:11], 1, v[12:13]
	.loc	1 22 68                         ; matmul.py:22:68
	s_wait_alu depctr_sa_sdst(0)
	s_cselect_b32 s49, s50, s49
	s_add_co_i32 s50, s43, 0xb8
	s_xor_b32 s49, s49, s42
	s_wait_alu depctr_sa_sdst(0)
	s_xor_b32 s50, s50, s42
	s_sub_co_i32 s49, s49, s42
	s_wait_alu depctr_sa_sdst(0)
	s_mul_hi_u32 s52, s50, s44
	.loc	1 29 22                         ; matmul.py:29:22
	v_ashrrev_i32_e32 v17, 31, v16
	.loc	1 22 68                         ; matmul.py:22:68
	s_mul_i32 s52, s52, s40
	.loc	1 29 22                         ; matmul.py:29:22
	v_lshlrev_b64_e32 v[8:9], 1, v[8:9]
	.loc	1 22 68                         ; matmul.py:22:68
	s_sub_co_i32 s50, s50, s52
	.loc	1 29 22                         ; matmul.py:29:22
	scratch_store_b64 off, v[14:15], off offset:24 ; 8-byte Folded Spill
	.loc	1 22 68                         ; matmul.py:22:68
	s_wait_alu depctr_sa_sdst(0)
	s_sub_co_i32 s52, s50, s40
	s_cmp_ge_u32 s50, s40
	.loc	1 29 22                         ; matmul.py:29:22
	v_lshlrev_b64_e32 v[14:15], 1, v[16:17]
	.loc	1 22 68                         ; matmul.py:22:68
	s_cselect_b32 s50, s52, s50
	scratch_store_b64 off, v[10:11], off offset:16 ; 8-byte Folded Spill
	s_wait_alu depctr_sa_sdst(0)
	s_sub_co_i32 s52, s50, s40
	s_cmp_ge_u32 s50, s40
	.loc	1 25 53                         ; matmul.py:25:53
	v_mad_co_u64_u32 v[10:11], null, s46, s8, v[0:1]
	.loc	1 22 68                         ; matmul.py:22:68
	s_cselect_b32 s50, s52, s50
	s_add_co_i32 s52, s43, 0xb0
	s_wait_alu depctr_sa_sdst(0)
	s_xor_b32 s50, s50, s42
	s_xor_b32 s52, s52, s42
	s_wait_alu depctr_sa_sdst(0)
	s_sub_co_i32 s50, s50, s42
	s_mul_hi_u32 s53, s52, s44
	.loc	1 25 53                         ; matmul.py:25:53
	v_mad_co_u64_u32 v[12:13], null, s47, s8, v[0:1]
	.loc	1 22 68                         ; matmul.py:22:68
	s_mul_i32 s53, s53, s40
	.loc	1 25 53                         ; matmul.py:25:53
	v_mad_co_u64_u32 v[28:29], null, s48, s8, v[0:1]
	.loc	1 22 68                         ; matmul.py:22:68
	s_sub_co_i32 s52, s52, s53
	.loc	1 25 53                         ; matmul.py:25:53
	v_mad_co_u64_u32 v[30:31], null, s49, s8, v[0:1]
	.loc	1 22 68                         ; matmul.py:22:68
	s_sub_co_i32 s53, s52, s40
	s_cmp_ge_u32 s52, s40
	.loc	1 25 53                         ; matmul.py:25:53
	s_wait_alu depctr_sa_sdst(0)
	v_mad_co_u64_u32 v[32:33], null, s50, s8, v[0:1]
	.loc	1 22 68                         ; matmul.py:22:68
	s_cselect_b32 s52, s53, s52
	.loc	1 29 22                         ; matmul.py:29:22
	v_mad_co_u64_u32 v[18:19], null, s10, s29, v[5:6]
	.loc	1 22 68                         ; matmul.py:22:68
	s_sub_co_i32 s53, s52, s40
	s_cmp_ge_u32 s52, s40
	.loc	1 29 22                         ; matmul.py:29:22
	v_mad_co_u64_u32 v[20:21], null, s10, s28, v[5:6]
	.loc	1 22 68                         ; matmul.py:22:68
	s_cselect_b32 s52, s53, s52
	s_add_co_i32 s53, s43, 0xa8
	s_xor_b32 s52, s52, s42
	s_xor_b32 s53, s53, s42
	s_sub_co_i32 s52, s52, s42
	s_mul_hi_u32 s54, s53, s44
	.loc	1 29 22                         ; matmul.py:29:22
	v_ashrrev_i32_e32 v19, 31, v18
	.loc	1 22 68                         ; matmul.py:22:68
	s_mul_i32 s54, s54, s40
	.loc	1 29 22                         ; matmul.py:29:22
	v_mad_co_u64_u32 v[22:23], null, s10, s27, v[5:6]
	.loc	1 22 68                         ; matmul.py:22:68
	s_sub_co_i32 s53, s53, s54
	.loc	1 29 22                         ; matmul.py:29:22
	scratch_store_b64 off, v[14:15], off offset:32 ; 8-byte Folded Spill
	.loc	1 22 68                         ; matmul.py:22:68
	s_sub_co_i32 s54, s53, s40
	s_cmp_ge_u32 s53, s40
	.loc	1 29 22                         ; matmul.py:29:22
	v_lshlrev_b64_e32 v[14:15], 1, v[18:19]
	.loc	1 22 68                         ; matmul.py:22:68
	s_cselect_b32 s53, s54, s53
	.loc	1 29 22                         ; matmul.py:29:22
	v_ashrrev_i32_e32 v21, 31, v20
	.loc	1 22 68                         ; matmul.py:22:68
	s_sub_co_i32 s54, s53, s40
	s_cmp_ge_u32 s53, s40
	.loc	1 29 22                         ; matmul.py:29:22
	v_mad_co_u64_u32 v[24:25], null, s10, s26, v[5:6]
	.loc	1 22 68                         ; matmul.py:22:68
	s_cselect_b32 s53, s54, s53
	s_add_co_i32 s54, s43, 0xa0
	s_xor_b32 s53, s53, s42
	s_xor_b32 s54, s54, s42
	s_sub_co_i32 s53, s53, s42
	s_mul_hi_u32 s55, s54, s44
	.loc	1 29 22                         ; matmul.py:29:22
	scratch_store_b64 off, v[14:15], off offset:40 ; 8-byte Folded Spill
	.loc	1 22 68                         ; matmul.py:22:68
	s_mul_i32 s55, s55, s40
	.loc	1 29 22                         ; matmul.py:29:22
	v_lshlrev_b64_e32 v[14:15], 1, v[20:21]
	.loc	1 22 68                         ; matmul.py:22:68
	s_sub_co_i32 s54, s54, s55
	.loc	1 29 22                         ; matmul.py:29:22
	v_ashrrev_i32_e32 v23, 31, v22
	.loc	1 22 68                         ; matmul.py:22:68
	s_sub_co_i32 s55, s54, s40
	s_cmp_ge_u32 s54, s40
	.loc	1 29 22                         ; matmul.py:29:22
	v_ashrrev_i32_e32 v25, 31, v24
	.loc	1 22 68                         ; matmul.py:22:68
	s_cselect_b32 s54, s55, s54
	.loc	1 29 22                         ; matmul.py:29:22
	scratch_store_b64 off, v[14:15], off offset:48 ; 8-byte Folded Spill
	.loc	1 22 68                         ; matmul.py:22:68
	s_sub_co_i32 s55, s54, s40
	s_cmp_ge_u32 s54, s40
	.loc	1 29 22                         ; matmul.py:29:22
	v_lshlrev_b64_e32 v[14:15], 1, v[22:23]
	.loc	1 22 68                         ; matmul.py:22:68
	s_cselect_b32 s54, s55, s54
	s_add_co_i32 s55, s43, 0x98
	s_xor_b32 s54, s54, s42
	s_xor_b32 s55, s55, s42
	s_sub_co_i32 s54, s54, s42
	s_mul_hi_u32 s56, s55, s44
	.loc	1 29 22                         ; matmul.py:29:22
	v_mad_co_u64_u32 v[22:23], null, s10, s19, v[5:6]
	.loc	1 22 68                         ; matmul.py:22:68
	s_wait_alu depctr_sa_sdst(0)
	s_mul_i32 s56, s56, s40
	.loc	1 29 22                         ; matmul.py:29:22
	v_lshlrev_b64_e32 v[23:24], 1, v[24:25]
	.loc	1 22 68                         ; matmul.py:22:68
	s_wait_alu depctr_sa_sdst(0)
	s_sub_co_i32 s55, s55, s56
	.loc	1 29 22                         ; matmul.py:29:22
	scratch_store_b64 off, v[14:15], off offset:56 ; 8-byte Folded Spill
	.loc	1 22 68                         ; matmul.py:22:68
	s_sub_co_i32 s56, s55, s40
	s_cmp_ge_u32 s55, s40
	.loc	1 29 22                         ; matmul.py:29:22
	v_mad_co_u64_u32 v[14:15], null, s10, s23, v[5:6]
	.loc	1 22 68                         ; matmul.py:22:68
	s_wait_alu depctr_sa_sdst(0)
	s_cselect_b32 s55, s56, s55
	.loc	1 25 53                         ; matmul.py:25:53
	v_mad_co_u64_u32 v[34:35], null, s52, s8, v[0:1]
	.loc	1 22 68                         ; matmul.py:22:68
	s_sub_co_i32 s56, s55, s40
	s_cmp_ge_u32 s55, s40
	.loc	1 25 53                         ; matmul.py:25:53
	v_mad_co_u64_u32 v[36:37], null, s53, s8, v[0:1]
	.loc	1 22 68                         ; matmul.py:22:68
	s_wait_alu depctr_sa_sdst(0)
	s_cselect_b32 s55, s56, s55
	s_add_co_i32 s56, s43, 0x90
	s_xor_b32 s55, s55, s42
	s_wait_alu depctr_sa_sdst(0)
	s_xor_b32 s56, s56, s42
	s_sub_co_i32 s55, s55, s42
	s_wait_alu depctr_sa_sdst(0)
	s_mul_hi_u32 s61, s56, s44
	.loc	1 25 53                         ; matmul.py:25:53
	v_mad_co_u64_u32 v[38:39], null, s54, s8, v[0:1]
	.loc	1 22 68                         ; matmul.py:22:68
	s_wait_alu depctr_sa_sdst(0)
	s_mul_i32 s61, s61, s40
	.loc	1 25 53                         ; matmul.py:25:53
	v_mad_co_u64_u32 v[40:41], null, s55, s8, v[0:1]
	.loc	1 22 68                         ; matmul.py:22:68
	s_wait_alu depctr_sa_sdst(0)
	s_sub_co_i32 s56, s56, s61
	.loc	1 29 22                         ; matmul.py:29:22
	v_lshlrev_b64_e32 v[192:193], 1, v[1:2]
	.loc	1 22 68                         ; matmul.py:22:68
	s_wait_alu depctr_sa_sdst(0)
	s_sub_co_i32 s61, s56, s40
	s_cmp_ge_u32 s56, s40
	.loc	1 29 22                         ; matmul.py:29:22
	v_mad_co_u64_u32 v[16:17], null, s10, s22, v[5:6]
	.loc	1 22 68                         ; matmul.py:22:68
	s_wait_alu depctr_sa_sdst(0)
	s_cselect_b32 s56, s61, s56
	.loc	1 29 22                         ; matmul.py:29:22
	v_lshlrev_b64_e32 v[194:195], 1, v[3:4]
	.loc	1 22 68                         ; matmul.py:22:68
	s_wait_alu depctr_sa_sdst(0)
	s_sub_co_i32 s61, s56, s40
	s_cmp_ge_u32 s56, s40
	.loc	1 29 22                         ; matmul.py:29:22
	v_ashrrev_i32_e32 v15, 31, v14
	.loc	1 22 68                         ; matmul.py:22:68
	s_wait_alu depctr_sa_sdst(0)
	s_cselect_b32 s56, s61, s56
	s_add_co_i32 s61, s43, 0x88
	s_wait_alu depctr_sa_sdst(0)
	s_xor_b32 s56, s56, s42
	s_xor_b32 s61, s61, s42
	s_wait_alu depctr_sa_sdst(0)
	s_sub_co_i32 s56, s56, s42
	s_mul_hi_u32 s62, s61, s44
	.loc	1 25 53                         ; matmul.py:25:53
	s_wait_alu depctr_sa_sdst(0)
	v_mad_co_u64_u32 v[42:43], null, s56, s8, v[0:1]
	.loc	1 22 68                         ; matmul.py:22:68
	s_mul_i32 s62, s62, s40
	.loc	1 29 22                         ; matmul.py:29:22
	v_mad_co_u64_u32 v[18:19], null, s10, s21, v[5:6]
	.loc	1 22 68                         ; matmul.py:22:68
	s_sub_co_i32 s61, s61, s62
	.loc	1 29 22                         ; matmul.py:29:22
	v_lshlrev_b64_e32 v[14:15], 1, v[14:15]
	.loc	1 22 68                         ; matmul.py:22:68
	s_wait_alu depctr_sa_sdst(0)
	s_sub_co_i32 s62, s61, s40
	s_cmp_ge_u32 s61, s40
	.loc	1 29 22                         ; matmul.py:29:22
	v_ashrrev_i32_e32 v17, 31, v16
	.loc	1 22 68                         ; matmul.py:22:68
	s_cselect_b32 s61, s62, s61
	.loc	1 29 22                         ; matmul.py:29:22
	v_mad_co_u64_u32 v[20:21], null, s10, s20, v[5:6]
	.loc	1 22 68                         ; matmul.py:22:68
	s_wait_alu depctr_sa_sdst(0)
	s_sub_co_i32 s62, s61, s40
	s_cmp_ge_u32 s61, s40
	.loc	1 29 22                         ; matmul.py:29:22
	s_clause 0x1                            ; 16-byte Folded Spill
	scratch_store_b64 off, v[23:24], off offset:64
	scratch_store_b64 off, v[14:15], off offset:88
	.loc	1 22 68                         ; matmul.py:22:68
	s_cselect_b32 s61, s62, s61
	s_add_co_i32 s62, s43, 0x80
	s_wait_alu depctr_sa_sdst(0)
	s_xor_b32 s61, s61, s42
	s_xor_b32 s62, s62, s42
	s_wait_alu depctr_sa_sdst(0)
	s_sub_co_i32 s61, s61, s42
	s_mul_hi_u32 s63, s62, s44
	.loc	1 25 53                         ; matmul.py:25:53
	s_wait_alu depctr_sa_sdst(0)
	v_mad_co_u64_u32 v[44:45], null, s61, s8, v[0:1]
	.loc	1 22 68                         ; matmul.py:22:68
	s_mul_i32 s63, s63, s40
	.loc	1 29 22                         ; matmul.py:29:22
	v_lshlrev_b64_e32 v[14:15], 1, v[16:17]
	.loc	1 22 68                         ; matmul.py:22:68
	s_sub_co_i32 s62, s62, s63
	.loc	1 29 22                         ; matmul.py:29:22
	v_ashrrev_i32_e32 v19, 31, v18
	.loc	1 22 68                         ; matmul.py:22:68
	s_sub_co_i32 s63, s62, s40
	s_cmp_ge_u32 s62, s40
	.loc	1 29 22                         ; matmul.py:29:22
	v_ashrrev_i32_e32 v21, 31, v20
	.loc	1 22 68                         ; matmul.py:22:68
	s_cselect_b32 s62, s63, s62
	.loc	1 25 22                         ; matmul.py:25:22
	v_ashrrev_i32_e32 v7, 31, v6
	.loc	1 22 68                         ; matmul.py:22:68
	s_sub_co_i32 s60, s62, s40
	s_cmp_ge_u32 s62, s40
	.loc	1 25 22                         ; matmul.py:25:22
	v_ashrrev_i32_e32 v27, 31, v26
	.loc	1 22 68                         ; matmul.py:22:68
	s_wait_alu depctr_sa_sdst(0)
	s_cselect_b32 s60, s60, s62
	s_add_co_i32 s62, s43, 0x78
	s_wait_alu depctr_sa_sdst(0)
	s_xor_b32 s60, s60, s42
	s_xor_b32 s62, s62, s42
	s_wait_alu depctr_sa_sdst(0)
	s_sub_co_i32 s60, s60, s42
	s_mul_hi_u32 s63, s62, s44
	.loc	1 25 53                         ; matmul.py:25:53
	s_wait_alu depctr_sa_sdst(0)
	v_mad_co_u64_u32 v[46:47], null, s60, s8, v[0:1]
	.loc	1 22 68                         ; matmul.py:22:68
	s_mul_i32 s63, s63, s40
	.loc	1 25 22                         ; matmul.py:25:22
	v_ashrrev_i32_e32 v11, 31, v10
	.loc	1 22 68                         ; matmul.py:22:68
	s_sub_co_i32 s62, s62, s63
	.loc	1 25 22                         ; matmul.py:25:22
	v_ashrrev_i32_e32 v13, 31, v12
	.loc	1 22 68                         ; matmul.py:22:68
	s_sub_co_i32 s63, s62, s40
	s_cmp_ge_u32 s62, s40
	.loc	1 25 22                         ; matmul.py:25:22
	v_ashrrev_i32_e32 v29, 31, v28
	.loc	1 22 68                         ; matmul.py:22:68
	s_cselect_b32 s62, s63, s62
	.loc	1 25 22                         ; matmul.py:25:22
	v_ashrrev_i32_e32 v31, 31, v30
	.loc	1 22 68                         ; matmul.py:22:68
	s_sub_co_i32 s63, s62, s40
	s_cmp_ge_u32 s62, s40
	.loc	1 25 22                         ; matmul.py:25:22
	v_ashrrev_i32_e32 v33, 31, v32
	.loc	1 22 68                         ; matmul.py:22:68
	s_cselect_b32 s62, s63, s62
	s_add_co_i32 s63, s43, 0x70
	s_xor_b32 s62, s62, s42
	s_xor_b32 s63, s63, s42
	.loc	1 25 22                         ; matmul.py:25:22
	v_ashrrev_i32_e32 v35, 31, v34
	.loc	1 22 68                         ; matmul.py:22:68
	s_mul_hi_u32 s9, s63, s44
	.loc	1 25 22                         ; matmul.py:25:22
	v_ashrrev_i32_e32 v37, 31, v36
	.loc	1 22 68                         ; matmul.py:22:68
	s_wait_alu depctr_sa_sdst(0)
	s_mul_i32 s9, s9, s40
	.loc	1 25 22                         ; matmul.py:25:22
	v_ashrrev_i32_e32 v39, 31, v38
	.loc	1 22 68                         ; matmul.py:22:68
	s_wait_alu depctr_sa_sdst(0)
	s_sub_co_i32 s63, s63, s9
	s_sub_co_i32 s9, s62, s42
	;; [unrolled: 1-line block ×3, first 2 shown]
	s_cmp_ge_u32 s63, s40
	.loc	1 25 53                         ; matmul.py:25:53
	s_wait_alu depctr_sa_sdst(0)
	v_mad_co_u64_u32 v[48:49], null, s9, s8, v[0:1]
	.loc	1 22 68                         ; matmul.py:22:68
	s_cselect_b32 s62, s62, s63
	.loc	1 25 22                         ; matmul.py:25:22
	v_ashrrev_i32_e32 v41, 31, v40
	.loc	1 22 68                         ; matmul.py:22:68
	s_sub_co_i32 s63, s62, s40
	s_cmp_ge_u32 s62, s40
	.loc	1 25 22                         ; matmul.py:25:22
	v_ashrrev_i32_e32 v43, 31, v42
	.loc	1 22 68                         ; matmul.py:22:68
	s_cselect_b32 s62, s63, s62
	s_add_co_i32 s63, s43, 0x68
	s_xor_b32 s59, s62, s42
	s_xor_b32 s57, s63, s42
	.loc	1 25 22                         ; matmul.py:25:22
	v_ashrrev_i32_e32 v45, 31, v44
	.loc	1 22 68                         ; matmul.py:22:68
	s_wait_alu depctr_sa_sdst(0)
	s_mul_hi_u32 s41, s57, s44
	.loc	1 25 22                         ; matmul.py:25:22
	v_ashrrev_i32_e32 v47, 31, v46
	.loc	1 22 68                         ; matmul.py:22:68
	s_wait_alu depctr_sa_sdst(0)
	s_mul_i32 s41, s41, s40
	.loc	1 25 22                         ; matmul.py:25:22
	v_ashrrev_i32_e32 v49, 31, v48
	.loc	1 22 68                         ; matmul.py:22:68
	s_wait_alu depctr_sa_sdst(0)
	s_sub_co_i32 s41, s57, s41
	s_sub_co_i32 s57, s59, s42
	s_wait_alu depctr_sa_sdst(0)
	s_sub_co_i32 s59, s41, s40
	s_cmp_ge_u32 s41, s40
	.loc	1 25 53                         ; matmul.py:25:53
	v_mad_co_u64_u32 v[50:51], null, s57, s8, v[0:1]
	.loc	1 22 68                         ; matmul.py:22:68
	s_wait_alu depctr_sa_sdst(0)
	s_cselect_b32 s41, s59, s41
	.loc	1 29 22                         ; matmul.py:29:22
	v_lshlrev_b64_e32 v[196:197], 1, v[6:7]
	.loc	1 22 68                         ; matmul.py:22:68
	s_wait_alu depctr_sa_sdst(0)
	s_sub_co_i32 s59, s41, s40
	s_cmp_ge_u32 s41, s40
	.loc	1 29 22                         ; matmul.py:29:22
	v_lshlrev_b64_e32 v[198:199], 1, v[26:27]
	.loc	1 22 68                         ; matmul.py:22:68
	s_wait_alu depctr_sa_sdst(0)
	s_cselect_b32 s41, s59, s41
	s_add_co_i32 s51, s43, 0x60
	s_wait_alu depctr_sa_sdst(0)
	s_xor_b32 s41, s41, s42
	s_xor_b32 s51, s51, s42
	s_wait_alu depctr_sa_sdst(0)
	s_sub_co_i32 s41, s41, s42
	s_mul_hi_u32 s11, s51, s44
	.loc	1 25 53                         ; matmul.py:25:53
	s_wait_alu depctr_sa_sdst(0)
	v_mad_co_u64_u32 v[52:53], null, s41, s8, v[0:1]
	.loc	1 22 68                         ; matmul.py:22:68
	s_mul_i32 s11, s11, s40
	.loc	1 25 22                         ; matmul.py:25:22
	v_ashrrev_i32_e32 v51, 31, v50
	.loc	1 22 68                         ; matmul.py:22:68
	s_wait_alu depctr_sa_sdst(0)
	s_sub_co_i32 s11, s51, s11
	.loc	1 29 22                         ; matmul.py:29:22
	v_lshlrev_b64_e32 v[200:201], 1, v[10:11]
	.loc	1 22 68                         ; matmul.py:22:68
	s_wait_alu depctr_sa_sdst(0)
	s_sub_co_i32 s51, s11, s40
	s_cmp_ge_u32 s11, s40
	.loc	1 25 22                         ; matmul.py:25:22
	v_ashrrev_i32_e32 v53, 31, v52
	.loc	1 22 68                         ; matmul.py:22:68
	s_wait_alu depctr_sa_sdst(0)
	s_cselect_b32 s11, s51, s11
	.loc	1 29 22                         ; matmul.py:29:22
	v_lshlrev_b64_e32 v[202:203], 1, v[12:13]
	.loc	1 22 68                         ; matmul.py:22:68
	s_wait_alu depctr_sa_sdst(0)
	s_sub_co_i32 s51, s11, s40
	s_cmp_ge_u32 s11, s40
	.loc	1 29 22                         ; matmul.py:29:22
	v_lshlrev_b64_e32 v[204:205], 1, v[28:29]
	.loc	1 22 68                         ; matmul.py:22:68
	s_wait_alu depctr_sa_sdst(0)
	s_cselect_b32 s11, s51, s11
	s_add_co_i32 s51, s43, 0x58
	s_wait_alu depctr_sa_sdst(0)
	s_xor_b32 s11, s11, s42
	s_xor_b32 s51, s51, s42
	s_wait_alu depctr_sa_sdst(0)
	s_sub_co_i32 s11, s11, s42
	s_mul_hi_u32 s58, s51, s44
	.loc	1 25 53                         ; matmul.py:25:53
	s_wait_alu depctr_sa_sdst(0)
	v_mad_co_u64_u32 v[54:55], null, s11, s8, v[0:1]
	.loc	1 22 68                         ; matmul.py:22:68
	s_mul_i32 s58, s58, s40
	.loc	1 29 22                         ; matmul.py:29:22
	v_lshlrev_b64_e32 v[206:207], 1, v[30:31]
	.loc	1 22 68                         ; matmul.py:22:68
	s_wait_alu depctr_sa_sdst(0)
	s_sub_co_i32 s51, s51, s58
	.loc	1 29 22                         ; matmul.py:29:22
	v_lshlrev_b64_e32 v[208:209], 1, v[32:33]
	.loc	1 22 68                         ; matmul.py:22:68
	s_wait_alu depctr_sa_sdst(0)
	s_sub_co_i32 s58, s51, s40
	s_cmp_ge_u32 s51, s40
	.loc	1 25 22                         ; matmul.py:25:22
	v_ashrrev_i32_e32 v55, 31, v54
	.loc	1 22 68                         ; matmul.py:22:68
	s_wait_alu depctr_sa_sdst(0)
	s_cselect_b32 s51, s58, s51
	.loc	1 29 22                         ; matmul.py:29:22
	v_lshlrev_b64_e32 v[210:211], 1, v[34:35]
	.loc	1 22 68                         ; matmul.py:22:68
	s_wait_alu depctr_sa_sdst(0)
	s_sub_co_i32 s58, s51, s40
	s_cmp_ge_u32 s51, s40
	.loc	1 29 22                         ; matmul.py:29:22
	v_lshlrev_b64_e32 v[212:213], 1, v[36:37]
	.loc	1 22 68                         ; matmul.py:22:68
	s_wait_alu depctr_sa_sdst(0)
	s_cselect_b32 s51, s58, s51
	s_add_co_i32 s58, s43, 0x50
	s_wait_alu depctr_sa_sdst(0)
	s_xor_b32 s51, s51, s42
	s_xor_b32 s58, s58, s42
	s_wait_alu depctr_sa_sdst(0)
	s_sub_co_i32 s51, s51, s42
	s_mul_hi_u32 s59, s58, s44
	.loc	1 25 53                         ; matmul.py:25:53
	s_wait_alu depctr_sa_sdst(0)
	v_mad_co_u64_u32 v[56:57], null, s51, s8, v[0:1]
	.loc	1 22 68                         ; matmul.py:22:68
	s_mul_i32 s59, s59, s40
	.loc	1 29 22                         ; matmul.py:29:22
	v_lshlrev_b64_e32 v[214:215], 1, v[38:39]
	;; [unrolled: 39-line block ×3, first 2 shown]
	.loc	1 22 68                         ; matmul.py:22:68
	s_sub_co_i32 s59, s59, s62
	.loc	1 29 22                         ; matmul.py:29:22
	v_lshlrev_b64_e32 v[224:225], 1, v[48:49]
	.loc	1 22 68                         ; matmul.py:22:68
	s_wait_alu depctr_sa_sdst(0)
	s_sub_co_i32 s62, s59, s40
	s_cmp_ge_u32 s59, s40
	.loc	1 25 22                         ; matmul.py:25:22
	v_ashrrev_i32_e32 v59, 31, v58
	.loc	1 22 68                         ; matmul.py:22:68
	s_cselect_b32 s45, s62, s59
	.loc	1 29 22                         ; matmul.py:29:22
	v_lshlrev_b64_e32 v[226:227], 1, v[50:51]
	.loc	1 22 68                         ; matmul.py:22:68
	s_wait_alu depctr_sa_sdst(0)
	s_sub_co_i32 s59, s45, s40
	s_cmp_ge_u32 s45, s40
	.loc	1 29 22                         ; matmul.py:29:22
	v_lshlrev_b64_e32 v[228:229], 1, v[52:53]
	.loc	1 22 68                         ; matmul.py:22:68
	s_wait_alu depctr_sa_sdst(0)
	s_cselect_b32 s45, s59, s45
	s_add_co_i32 s59, s43, 64
	s_wait_alu depctr_sa_sdst(0)
	s_xor_b32 s45, s45, s42
	s_xor_b32 s59, s59, s42
	s_wait_alu depctr_sa_sdst(0)
	s_sub_co_i32 s45, s45, s42
	s_mul_hi_u32 s46, s59, s44
	.loc	1 25 53                         ; matmul.py:25:53
	s_wait_alu depctr_sa_sdst(0)
	v_mad_co_u64_u32 v[60:61], null, s45, s8, v[0:1]
	.loc	1 22 68                         ; matmul.py:22:68
	s_mul_i32 s46, s46, s40
	.loc	1 29 22                         ; matmul.py:29:22
	v_lshlrev_b64_e32 v[230:231], 1, v[54:55]
	.loc	1 22 68                         ; matmul.py:22:68
	s_wait_alu depctr_sa_sdst(0)
	s_sub_co_i32 s46, s59, s46
	.loc	1 29 22                         ; matmul.py:29:22
	v_lshlrev_b64_e32 v[232:233], 1, v[56:57]
	.loc	1 22 68                         ; matmul.py:22:68
	s_wait_alu depctr_sa_sdst(0)
	s_sub_co_i32 s47, s46, s40
	s_cmp_ge_u32 s46, s40
	.loc	1 25 22                         ; matmul.py:25:22
	v_ashrrev_i32_e32 v61, 31, v60
	.loc	1 22 68                         ; matmul.py:22:68
	s_wait_alu depctr_sa_sdst(0)
	s_cselect_b32 s46, s47, s46
	.loc	1 29 22                         ; matmul.py:29:22
	v_lshlrev_b64_e32 v[234:235], 1, v[58:59]
	.loc	1 22 68                         ; matmul.py:22:68
	s_wait_alu depctr_sa_sdst(0)
	s_sub_co_i32 s47, s46, s40
	s_cmp_ge_u32 s46, s40
	.loc	1 29 22                         ; matmul.py:29:22
	v_lshlrev_b64_e32 v[236:237], 1, v[60:61]
	.loc	1 22 68                         ; matmul.py:22:68
	s_wait_alu depctr_sa_sdst(0)
	s_cselect_b32 s46, s47, s46
	s_add_co_i32 s47, s43, 56
	s_wait_alu depctr_sa_sdst(0)
	s_xor_b32 s46, s46, s42
	s_xor_b32 s47, s47, s42
	s_wait_alu depctr_sa_sdst(0)
	s_sub_co_i32 s46, s46, s42
	s_mul_hi_u32 s48, s47, s44
	.loc	1 25 53                         ; matmul.py:25:53
	s_wait_alu depctr_sa_sdst(0)
	v_mad_co_u64_u32 v[62:63], null, s46, s8, v[0:1]
	.loc	1 22 68                         ; matmul.py:22:68
	s_mul_i32 s48, s48, s40
	.loc	1 29 22                         ; matmul.py:29:22
	scratch_store_b64 off, v[8:9], off offset:128 ; 8-byte Folded Spill
	.loc	1 22 68                         ; matmul.py:22:68
	s_wait_alu depctr_sa_sdst(0)
	s_sub_co_i32 s47, s47, s48
	.loc	1 29 22                         ; matmul.py:29:22
	scratch_store_b64 off, v[14:15], off offset:96 ; 8-byte Folded Spill
	.loc	1 22 68                         ; matmul.py:22:68
	s_wait_alu depctr_sa_sdst(0)
	s_sub_co_i32 s48, s47, s40
	s_cmp_ge_u32 s47, s40
	.loc	1 29 22                         ; matmul.py:29:22
	v_lshlrev_b64_e32 v[14:15], 1, v[18:19]
	.loc	1 22 68                         ; matmul.py:22:68
	s_wait_alu depctr_sa_sdst(0)
	s_cselect_b32 s47, s48, s47
	.loc	1 25 22                         ; matmul.py:25:22
	v_ashrrev_i32_e32 v63, 31, v62
	.loc	1 22 68                         ; matmul.py:22:68
	s_wait_alu depctr_sa_sdst(0)
	s_sub_co_i32 s48, s47, s40
	s_cmp_ge_u32 s47, s40
	s_wait_alu depctr_sa_sdst(0)
	s_cselect_b32 s47, s48, s47
	s_add_co_i32 s48, s43, 48
	s_wait_alu depctr_sa_sdst(0)
	s_xor_b32 s47, s47, s42
	s_xor_b32 s48, s48, s42
	s_wait_alu depctr_sa_sdst(0)
	s_sub_co_i32 s47, s47, s42
	s_mul_hi_u32 s49, s48, s44
	.loc	1 25 53                         ; matmul.py:25:53
	s_wait_alu depctr_sa_sdst(0)
	v_mad_co_u64_u32 v[64:65], null, s47, s8, v[0:1]
	.loc	1 22 68                         ; matmul.py:22:68
	s_mul_i32 s49, s49, s40
	.loc	1 29 22                         ; matmul.py:29:22
	v_lshlrev_b64_e32 v[238:239], 1, v[62:63]
	.loc	1 22 68                         ; matmul.py:22:68
	s_wait_alu depctr_sa_sdst(0)
	s_sub_co_i32 s48, s48, s49
	.loc	1 29 22                         ; matmul.py:29:22
	scratch_store_b64 off, v[14:15], off offset:104 ; 8-byte Folded Spill
	.loc	1 22 68                         ; matmul.py:22:68
	s_wait_alu depctr_sa_sdst(0)
	s_sub_co_i32 s49, s48, s40
	s_cmp_ge_u32 s48, s40
	.loc	1 29 22                         ; matmul.py:29:22
	v_lshlrev_b64_e32 v[14:15], 1, v[20:21]
	.loc	1 22 68                         ; matmul.py:22:68
	s_wait_alu depctr_sa_sdst(0)
	s_cselect_b32 s48, s49, s48
	.loc	1 25 22                         ; matmul.py:25:22
	v_ashrrev_i32_e32 v65, 31, v64
	.loc	1 22 68                         ; matmul.py:22:68
	s_wait_alu depctr_sa_sdst(0)
	s_sub_co_i32 s49, s48, s40
	s_cmp_ge_u32 s48, s40
	s_wait_alu depctr_sa_sdst(0)
	s_cselect_b32 s48, s49, s48
	s_add_co_i32 s49, s43, 40
	s_wait_alu depctr_sa_sdst(0)
	s_xor_b32 s48, s48, s42
	s_xor_b32 s49, s49, s42
	s_wait_alu depctr_sa_sdst(0)
	s_sub_co_i32 s48, s48, s42
	s_mul_hi_u32 s50, s49, s44
	.loc	1 25 53                         ; matmul.py:25:53
	s_wait_alu depctr_sa_sdst(0)
	v_mad_co_u64_u32 v[66:67], null, s48, s8, v[0:1]
	.loc	1 22 68                         ; matmul.py:22:68
	s_mul_i32 s50, s50, s40
	.loc	1 29 22                         ; matmul.py:29:22
	v_lshlrev_b64_e32 v[240:241], 1, v[64:65]
	.loc	1 22 68                         ; matmul.py:22:68
	s_wait_alu depctr_sa_sdst(0)
	s_sub_co_i32 s49, s49, s50
	.loc	1 29 22                         ; matmul.py:29:22
	scratch_store_b64 off, v[14:15], off offset:112 ; 8-byte Folded Spill
	.loc	1 22 68                         ; matmul.py:22:68
	s_wait_alu depctr_sa_sdst(0)
	s_sub_co_i32 s50, s49, s40
	s_cmp_ge_u32 s49, s40
	.loc	1 25 22                         ; matmul.py:25:22
	v_ashrrev_i32_e32 v67, 31, v66
	.loc	1 22 68                         ; matmul.py:22:68
	s_wait_alu depctr_sa_sdst(0)
	s_cselect_b32 s49, s50, s49
	s_wait_alu depctr_sa_sdst(0)
	s_sub_co_i32 s50, s49, s40
	s_cmp_ge_u32 s49, s40
	.loc	1 29 22                         ; matmul.py:29:22
	v_lshlrev_b64_e32 v[242:243], 1, v[66:67]
	.loc	1 22 68                         ; matmul.py:22:68
	s_wait_alu depctr_sa_sdst(0)
	s_cselect_b32 s49, s50, s49
	s_add_co_i32 s50, s43, 32
	s_wait_alu depctr_sa_sdst(0)
	s_xor_b32 s49, s49, s42
	s_xor_b32 s50, s50, s42
	s_wait_alu depctr_sa_sdst(0)
	s_sub_co_i32 s49, s49, s42
	s_mul_hi_u32 s9, s50, s44
	.loc	1 25 53                         ; matmul.py:25:53
	s_wait_alu depctr_sa_sdst(0)
	v_mad_co_u64_u32 v[68:69], null, s49, s8, v[0:1]
	.loc	1 22 68                         ; matmul.py:22:68
	s_mul_i32 s9, s9, s40
	s_wait_alu depctr_sa_sdst(0)
	s_sub_co_i32 s9, s50, s9
	s_wait_alu depctr_sa_sdst(0)
	s_sub_co_i32 s50, s9, s40
	s_cmp_ge_u32 s9, s40
	.loc	1 25 22                         ; matmul.py:25:22
	v_ashrrev_i32_e32 v69, 31, v68
	.loc	1 22 68                         ; matmul.py:22:68
	s_wait_alu depctr_sa_sdst(0)
	s_cselect_b32 s9, s50, s9
	s_wait_alu depctr_sa_sdst(0)
	s_sub_co_i32 s41, s9, s40
	s_cmp_ge_u32 s9, s40
	.loc	1 29 22                         ; matmul.py:29:22
	v_lshlrev_b64_e32 v[244:245], 1, v[68:69]
	.loc	1 22 68                         ; matmul.py:22:68
	s_wait_alu depctr_sa_sdst(0)
	s_cselect_b32 s9, s41, s9
	s_add_co_i32 s41, s43, 24
	s_wait_alu depctr_sa_sdst(0)
	s_xor_b32 s9, s9, s42
	s_xor_b32 s41, s41, s42
	s_wait_alu depctr_sa_sdst(0)
	s_sub_co_i32 s9, s9, s42
	s_mul_hi_u32 s11, s41, s44
	.loc	1 25 53                         ; matmul.py:25:53
	s_wait_alu depctr_sa_sdst(0)
	v_mad_co_u64_u32 v[70:71], null, s9, s8, v[0:1]
	.loc	1 22 68                         ; matmul.py:22:68
	s_mul_i32 s11, s11, s40
	s_wait_alu depctr_sa_sdst(0)
	s_sub_co_i32 s11, s41, s11
	s_wait_alu depctr_sa_sdst(0)
	s_sub_co_i32 s41, s11, s40
	s_cmp_ge_u32 s11, s40
	.loc	1 25 22                         ; matmul.py:25:22
	v_ashrrev_i32_e32 v71, 31, v70
	.loc	1 22 68                         ; matmul.py:22:68
	s_wait_alu depctr_sa_sdst(0)
	s_cselect_b32 s11, s41, s11
	s_wait_alu depctr_sa_sdst(0)
	s_sub_co_i32 s41, s11, s40
	s_cmp_ge_u32 s11, s40
	.loc	1 29 22                         ; matmul.py:29:22
	v_lshlrev_b64_e32 v[246:247], 1, v[70:71]
	.loc	1 22 68                         ; matmul.py:22:68
	s_wait_alu depctr_sa_sdst(0)
	s_cselect_b32 s11, s41, s11
	s_add_co_i32 s41, s43, 16
	s_wait_alu depctr_sa_sdst(0)
	s_xor_b32 s11, s11, s42
	s_xor_b32 s41, s41, s42
	s_wait_alu depctr_sa_sdst(0)
	s_sub_co_i32 s11, s11, s42
	s_mul_hi_u32 s45, s41, s44
	.loc	1 25 53                         ; matmul.py:25:53
	s_wait_alu depctr_sa_sdst(0)
	v_mad_co_u64_u32 v[72:73], null, s11, s8, v[0:1]
	.loc	1 22 68                         ; matmul.py:22:68
	s_mul_i32 s45, s45, s40
	s_wait_alu depctr_sa_sdst(0)
	s_sub_co_i32 s41, s41, s45
	s_wait_alu depctr_sa_sdst(0)
	s_sub_co_i32 s45, s41, s40
	s_cmp_ge_u32 s41, s40
	.loc	1 25 22                         ; matmul.py:25:22
	v_ashrrev_i32_e32 v73, 31, v72
	.loc	1 22 68                         ; matmul.py:22:68
	s_wait_alu depctr_sa_sdst(0)
	s_cselect_b32 s41, s45, s41
	s_wait_alu depctr_sa_sdst(0)
	s_sub_co_i32 s45, s41, s40
	s_cmp_ge_u32 s41, s40
	.loc	1 29 22                         ; matmul.py:29:22
	v_lshlrev_b64_e32 v[248:249], 1, v[72:73]
	.loc	1 22 68                         ; matmul.py:22:68
	s_wait_alu depctr_sa_sdst(0)
	s_cselect_b32 s41, s45, s41
	s_add_co_i32 s45, s43, 8
	s_wait_alu depctr_sa_sdst(0)
	s_xor_b32 s41, s41, s42
	s_xor_b32 s45, s45, s42
	s_wait_alu depctr_sa_sdst(0)
	s_sub_co_i32 s41, s41, s42
	s_mul_hi_u32 s46, s45, s44
	.loc	1 25 53                         ; matmul.py:25:53
	s_wait_alu depctr_sa_sdst(0)
	v_mad_co_u64_u32 v[74:75], null, s41, s8, v[0:1]
	.loc	1 22 68                         ; matmul.py:22:68
	s_mul_i32 s46, s46, s40
	s_wait_alu depctr_sa_sdst(0)
	s_sub_co_i32 s45, s45, s46
	s_wait_alu depctr_sa_sdst(0)
	s_sub_co_i32 s46, s45, s40
	s_cmp_ge_u32 s45, s40
	.loc	1 25 22                         ; matmul.py:25:22
	v_ashrrev_i32_e32 v75, 31, v74
	.loc	1 22 68                         ; matmul.py:22:68
	s_wait_alu depctr_sa_sdst(0)
	s_cselect_b32 s45, s46, s45
	s_wait_alu depctr_sa_sdst(0)
	s_sub_co_i32 s9, s45, s40
	s_cmp_ge_u32 s45, s40
	.loc	1 29 22                         ; matmul.py:29:22
	v_lshlrev_b64_e32 v[250:251], 1, v[74:75]
	.loc	1 22 68                         ; matmul.py:22:68
	s_wait_alu depctr_sa_sdst(0)
	s_cselect_b32 s9, s9, s45
	s_xor_b32 s43, s43, s42
	s_wait_alu depctr_sa_sdst(0)
	s_xor_b32 s9, s9, s42
	s_mul_hi_u32 s11, s43, s44
	s_wait_alu depctr_sa_sdst(0)
	s_sub_co_i32 s9, s9, s42
	s_mul_i32 s11, s11, s40
	.loc	1 25 53                         ; matmul.py:25:53
	s_wait_alu depctr_sa_sdst(0)
	v_mad_co_u64_u32 v[76:77], null, s9, s8, v[0:1]
	.loc	1 22 68                         ; matmul.py:22:68
	s_sub_co_i32 s11, s43, s11
	s_wait_alu depctr_sa_sdst(0)
	s_sub_co_i32 s43, s11, s40
	s_cmp_ge_u32 s11, s40
	s_cselect_b32 s11, s43, s11
	.loc	1 25 22                         ; matmul.py:25:22
	v_ashrrev_i32_e32 v77, 31, v76
	.loc	1 22 68                         ; matmul.py:22:68
	s_wait_alu depctr_sa_sdst(0)
	s_sub_co_i32 s41, s11, s40
	s_cmp_ge_u32 s11, s40
	s_wait_alu depctr_sa_sdst(0)
	s_cselect_b32 s9, s41, s11
	s_lshl_b32 s11, s13, 4
	s_wait_alu depctr_sa_sdst(0)
	s_xor_b32 s9, s9, s42
	s_and_b32 s3, s3, 32
	s_wait_alu depctr_sa_sdst(0)
	s_sub_co_i32 s9, s9, s42
	v_or3_b32 v160, s11, v80, v82
	.loc	1 25 53                         ; matmul.py:25:53
	s_wait_alu depctr_sa_sdst(0)
	v_mad_co_u64_u32 v[78:79], null, s9, s8, v[0:1]
	v_mov_b32_e32 v1, 0
	.loc	1 29 22                         ; matmul.py:29:22
	v_mad_co_u64_u32 v[82:83], null, s10, s24, v[5:6]
	v_xor_b32_e32 v85, 32, v160
	v_lshlrev_b64_e32 v[252:253], 1, v[76:77]
	s_delay_alu instid0(VALU_DEP_4) | instskip(SKIP_4) | instid1(VALU_DEP_4)
	v_mov_b32_e32 v4, v1
	v_add3_u32 v0, s3, 0, v81
	v_mad_co_u64_u32 v[80:81], null, s10, s25, v[5:6]
	v_ashrrev_i32_e32 v83, 31, v82
	.loc	1 25 22                         ; matmul.py:25:22
	v_ashrrev_i32_e32 v79, 31, v78
	v_lshl_add_u32 v161, v96, 1, v0
	v_dual_mov_b32 v7, v1 :: v_dual_add_nc_u32 v162, 0, v84
	v_dual_mov_b32 v6, v1 :: v_dual_add_nc_u32 v163, 0, v85
	.loc	1 29 22                         ; matmul.py:29:22
	v_ashrrev_i32_e32 v81, 31, v80
	v_lshlrev_b64_e32 v[254:255], 1, v[78:79]
	v_mov_b32_e32 v0, 0
	v_dual_mov_b32 v2, v1 :: v_dual_mov_b32 v3, v1
	s_delay_alu instid0(VALU_DEP_4)
	v_lshlrev_b64_e32 v[23:24], 1, v[80:81]
	v_dual_mov_b32 v5, v1 :: v_dual_mov_b32 v8, 0
	v_dual_mov_b32 v9, v1 :: v_dual_mov_b32 v10, v1
	v_mov_b32_e32 v11, v1
	scratch_store_b64 off, v[23:24], off offset:72 ; 8-byte Folded Spill
	v_lshlrev_b64_e32 v[23:24], 1, v[82:83]
	v_dual_mov_b32 v12, v1 :: v_dual_mov_b32 v13, v1
	v_dual_mov_b32 v16, 0 :: v_dual_mov_b32 v17, v1
	;; [unrolled: 1-line block ×3, first 2 shown]
	scratch_store_b64 off, v[23:24], off offset:80 ; 8-byte Folded Spill
	v_ashrrev_i32_e32 v23, 31, v22
	v_dual_mov_b32 v20, v1 :: v_dual_mov_b32 v21, v1
	v_dual_mov_b32 v24, 0 :: v_dual_mov_b32 v25, v1
	s_delay_alu instid0(VALU_DEP_3)
	v_lshlrev_b64_e32 v[14:15], 1, v[22:23]
	v_dual_mov_b32 v22, v1 :: v_dual_mov_b32 v23, v1
	v_dual_mov_b32 v26, v1 :: v_dual_mov_b32 v27, v1
	;; [unrolled: 1-line block ×3, first 2 shown]
	scratch_store_b64 off, v[14:15], off offset:120 ; 8-byte Folded Spill
	v_dual_mov_b32 v14, v1 :: v_dual_mov_b32 v15, v1
	v_dual_mov_b32 v30, v1 :: v_dual_mov_b32 v31, v1
	v_dual_mov_b32 v32, 0 :: v_dual_mov_b32 v33, v1
	v_dual_mov_b32 v34, v1 :: v_dual_mov_b32 v35, v1
	v_dual_mov_b32 v36, v1 :: v_dual_mov_b32 v37, v1
	v_dual_mov_b32 v38, v1 :: v_dual_mov_b32 v39, v1
	v_dual_mov_b32 v40, 0 :: v_dual_mov_b32 v41, v1
	v_dual_mov_b32 v42, v1 :: v_dual_mov_b32 v43, v1
	v_dual_mov_b32 v44, v1 :: v_dual_mov_b32 v45, v1
	v_dual_mov_b32 v46, v1 :: v_dual_mov_b32 v47, v1
	v_dual_mov_b32 v48, 0 :: v_dual_mov_b32 v49, v1
	v_dual_mov_b32 v50, v1 :: v_dual_mov_b32 v51, v1
	v_dual_mov_b32 v52, v1 :: v_dual_mov_b32 v53, v1
	v_dual_mov_b32 v54, v1 :: v_dual_mov_b32 v55, v1
	v_dual_mov_b32 v56, 0 :: v_dual_mov_b32 v57, v1
	v_dual_mov_b32 v58, v1 :: v_dual_mov_b32 v59, v1
	v_dual_mov_b32 v60, v1 :: v_dual_mov_b32 v61, v1
	v_dual_mov_b32 v62, v1 :: v_dual_mov_b32 v63, v1
	v_dual_mov_b32 v64, 0 :: v_dual_mov_b32 v65, v1
	v_dual_mov_b32 v66, v1 :: v_dual_mov_b32 v67, v1
	v_dual_mov_b32 v68, v1 :: v_dual_mov_b32 v69, v1
	v_dual_mov_b32 v70, v1 :: v_dual_mov_b32 v71, v1
	v_dual_mov_b32 v72, 0 :: v_dual_mov_b32 v73, v1
	v_dual_mov_b32 v74, v1 :: v_dual_mov_b32 v75, v1
	v_dual_mov_b32 v76, v1 :: v_dual_mov_b32 v77, v1
	v_dual_mov_b32 v78, v1 :: v_dual_mov_b32 v79, v1
	v_dual_mov_b32 v80, 0 :: v_dual_mov_b32 v81, v1
	v_dual_mov_b32 v82, v1 :: v_dual_mov_b32 v83, v1
	v_dual_mov_b32 v84, v1 :: v_dual_mov_b32 v85, v1
	v_dual_mov_b32 v86, v1 :: v_dual_mov_b32 v87, v1
	v_dual_mov_b32 v88, 0 :: v_dual_mov_b32 v89, v1
	v_dual_mov_b32 v90, v1 :: v_dual_mov_b32 v91, v1
	v_dual_mov_b32 v92, v1 :: v_dual_mov_b32 v93, v1
	v_dual_mov_b32 v94, v1 :: v_dual_mov_b32 v95, v1
	v_dual_mov_b32 v96, 0 :: v_dual_mov_b32 v97, v1
	v_dual_mov_b32 v98, v1 :: v_dual_mov_b32 v99, v1
	v_dual_mov_b32 v100, v1 :: v_dual_mov_b32 v101, v1
	v_dual_mov_b32 v102, v1 :: v_dual_mov_b32 v103, v1
	v_dual_mov_b32 v104, 0 :: v_dual_mov_b32 v105, v1
	v_dual_mov_b32 v106, v1 :: v_dual_mov_b32 v107, v1
	v_dual_mov_b32 v108, v1 :: v_dual_mov_b32 v109, v1
	v_dual_mov_b32 v110, v1 :: v_dual_mov_b32 v111, v1
	v_dual_mov_b32 v112, 0 :: v_dual_mov_b32 v113, v1
	v_dual_mov_b32 v114, v1 :: v_dual_mov_b32 v115, v1
	v_dual_mov_b32 v116, v1 :: v_dual_mov_b32 v117, v1
	v_dual_mov_b32 v118, v1 :: v_dual_mov_b32 v119, v1
	v_dual_mov_b32 v120, 0 :: v_dual_mov_b32 v121, v1
	v_dual_mov_b32 v122, v1 :: v_dual_mov_b32 v123, v1
	v_dual_mov_b32 v124, v1 :: v_dual_mov_b32 v125, v1
	v_dual_mov_b32 v126, v1 :: v_dual_mov_b32 v127, v1
	s_ashr_i32 s13, s12, 31
	s_ashr_i32 s3, s2, 31
	s_lshl_b64 s[8:9], s[12:13], 1
	s_wait_alu depctr_sa_sdst(0)
	s_lshl_b64 s[10:11], s[2:3], 1
	s_branch .LBB0_3
.LBB0_2:                                ;   in Loop: Header=BB0_3 Depth=1
	.loc	1 30 20                         ; matmul.py:30:20
	s_wait_loadcnt 0x0
	s_wait_storecnt 0x0
	s_barrier_signal -1
	.loc	1 29 22                         ; matmul.py:29:22
	s_add_co_i32 s35, s35, -1
	s_sub_co_i32 s17, s17, 32
	s_add_nc_u64 s[6:7], s[6:7], s[8:9]
	s_wait_alu depctr_sa_sdst(0)
	s_cmp_lg_u32 s35, 0
	s_add_nc_u64 s[4:5], s[4:5], s[10:11]
	.loc	1 30 20                         ; matmul.py:30:20
	s_barrier_wait -1
	global_inv scope:SCOPE_SE
	ds_store_b16 v162, v128
	ds_store_b16 v162, v130 offset:512
	ds_store_b16 v162, v129 offset:1024
	ds_store_b16 v162, v132 offset:1536
	ds_store_b16 v162, v131 offset:2048
	ds_store_b16 v162, v134 offset:2560
	ds_store_b16 v162, v133 offset:3072
	ds_store_b16 v162, v136 offset:3584
	ds_store_b16 v162, v135 offset:4096
	ds_store_b16 v162, v138 offset:4608
	ds_store_b16 v162, v137 offset:5120
	ds_store_b16 v162, v140 offset:5632
	ds_store_b16 v162, v139 offset:6144
	ds_store_b16 v162, v142 offset:6656
	ds_store_b16 v162, v141 offset:7168
	ds_store_b16 v162, v144 offset:7680
	ds_store_b16 v162, v143 offset:8192
	ds_store_b16 v162, v146 offset:8704
	ds_store_b16 v162, v145 offset:9216
	ds_store_b16 v162, v148 offset:9728
	ds_store_b16 v162, v147 offset:10240
	ds_store_b16 v162, v150 offset:10752
	ds_store_b16 v162, v149 offset:11264
	ds_store_b16 v162, v152 offset:11776
	ds_store_b16 v162, v151 offset:12288
	ds_store_b16 v162, v154 offset:12800
	ds_store_b16 v162, v153 offset:13312
	ds_store_b16 v162, v156 offset:13824
	ds_store_b16 v162, v155 offset:14336
	ds_store_b16 v162, v158 offset:14848
	ds_store_b16 v162, v157 offset:15360
	ds_store_b16 v162, v159 offset:15872
	s_wait_loadcnt_dscnt 0x0
	s_barrier_signal -1
	v_add_nc_u32_e32 v128, 0, v160
	s_barrier_wait -1
	global_inv scope:SCOPE_SE
	ds_load_b128 v[156:159], v128
	ds_load_b128 v[152:155], v128 offset:4096
	ds_load_b128 v[148:151], v128 offset:8192
	;; [unrolled: 1-line block ×3, first 2 shown]
	ds_load_b128 v[140:143], v163
	ds_load_b128 v[136:139], v163 offset:4096
	ds_load_b128 v[132:135], v163 offset:8192
	ds_load_b128 v[128:131], v163 offset:12288
	.loc	1 31 20                         ; matmul.py:31:20
	s_wait_loadcnt_dscnt 0x0
	s_barrier_signal -1
	s_barrier_wait -1
	global_inv scope:SCOPE_SE
	scratch_load_b32 v180, off, off offset:4 ; 4-byte Folded Reload
	s_wait_loadcnt 0x0
	v_add_nc_u32_e32 v180, 0, v180
	ds_store_b16 v180, v164
	ds_store_b16 v180, v166 offset:512
	ds_store_b16 v180, v165 offset:1024
	;; [unrolled: 1-line block ×15, first 2 shown]
	s_wait_dscnt 0x0
	s_barrier_signal -1
	s_barrier_wait -1
	global_inv scope:SCOPE_SE
	ds_load_u16 v166, v161 offset:1216
	ds_load_u16 v165, v161 offset:704
	;; [unrolled: 1-line block ×3, first 2 shown]
	ds_load_u16 v168, v161
	ds_load_u16 v171, v161 offset:1536
	ds_load_u16 v169, v161 offset:512
	;; [unrolled: 1-line block ×7, first 2 shown]
	s_wait_dscnt 0x9
	ds_load_u16_d16_hi v165, v161 offset:960
	ds_load_u16 v164, v161 offset:192
	ds_load_u16 v172, v161 offset:128
	s_wait_dscnt 0xa
	ds_load_u16_d16_hi v168, v161 offset:256
	ds_load_u16_d16_hi v170, v161 offset:1280
	s_wait_dscnt 0xa
	ds_load_u16_d16_hi v169, v161 offset:768
	s_wait_dscnt 0xa
	ds_load_u16_d16_hi v174, v161 offset:1408
	ds_load_u16_d16_hi v171, v161 offset:1792
	s_wait_dscnt 0xb
	ds_load_u16_d16_hi v175, v161 offset:1920
	ds_load_u16 v180, v161 offset:4096
	ds_load_u16 v184, v161 offset:4224
	;; [unrolled: 1-line block ×3, first 2 shown]
	s_wait_dscnt 0xa
	ds_load_u16_d16_hi v164, v161 offset:448
	ds_load_u16 v178, v161 offset:1088
	ds_load_u16_d16_hi v177, v161 offset:832
	ds_load_u16_d16_hi v173, v161 offset:896
	;; [unrolled: 1-line block ×3, first 2 shown]
	s_wait_dscnt 0xe
	ds_load_u16_d16_hi v172, v161 offset:384
	ds_load_u16 v181, v161 offset:4608
	ds_load_u16 v182, v161 offset:5120
	;; [unrolled: 1-line block ×5, first 2 shown]
	s_wait_dscnt 0xd
	ds_load_u16_d16_hi v180, v161 offset:4352
	ds_load_u16 v179, v161 offset:1600
	s_wait_dscnt 0xb
	ds_load_u16_d16_hi v178, v161 offset:1344
	ds_load_u16_d16_hi v166, v161 offset:1472
	.loc	1 32 35                         ; matmul.py:32:35
	v_wmma_f32_16x16x16_f16 v[0:7], v[168:171], v[156:159], v[0:7]
	v_wmma_f32_16x16x16_f16 v[32:39], v[168:171], v[152:155], v[32:39]
	;; [unrolled: 1-line block ×4, first 2 shown]
	.loc	1 31 20                         ; matmul.py:31:20
	s_wait_dscnt 0x2
	ds_load_u16_d16_hi v179, v161 offset:1856
	ds_load_u16_d16_hi v167, v161 offset:1984
	ds_load_u16 v185, v161 offset:4736
	ds_load_u16_d16_hi v184, v161 offset:4480
	ds_load_u16 v168, v161 offset:4160
	ds_load_u16 v188, v161 offset:4288
	.loc	1 32 35                         ; matmul.py:32:35
	v_wmma_f32_16x16x16_f16 v[16:23], v[172:175], v[156:159], v[16:23]
	v_wmma_f32_16x16x16_f16 v[48:55], v[172:175], v[152:155], v[48:55]
	;; [unrolled: 1-line block ×3, first 2 shown]
	.loc	1 31 20                         ; matmul.py:31:20
	ds_load_u16_d16_hi v181, v161 offset:4864
	s_wait_dscnt 0x4
	ds_load_u16_d16_hi v185, v161 offset:4992
	ds_load_u16_d16_hi v182, v161 offset:5376
	;; [unrolled: 1-line block ×5, first 2 shown]
	ds_load_u16 v189, v161 offset:4800
	ds_load_u16 v190, v161 offset:5312
	;; [unrolled: 1-line block ×6, first 2 shown]
	s_wait_dscnt 0xd
	ds_load_u16_d16_hi v168, v161 offset:4416
	s_wait_dscnt 0xd
	ds_load_u16_d16_hi v188, v161 offset:4544
	.loc	1 32 35                         ; matmul.py:32:35
	v_wmma_f32_16x16x16_f16 v[8:15], v[176:179], v[156:159], v[8:15]
	v_wmma_f32_16x16x16_f16 v[24:31], v[164:167], v[156:159], v[24:31]
	v_wmma_f32_16x16x16_f16 v[40:47], v[176:179], v[152:155], v[40:47]
	v_wmma_f32_16x16x16_f16 v[56:63], v[164:167], v[152:155], v[56:63]
	.loc	1 31 20                         ; matmul.py:31:20
	s_wait_dscnt 0x4
	ds_load_u16_d16_hi v169, v161 offset:4928
	ds_load_u16_d16_hi v189, v161 offset:5056
	s_wait_dscnt 0x5
	ds_load_u16_d16_hi v170, v161 offset:5440
	ds_load_u16_d16_hi v190, v161 offset:5568
	;; [unrolled: 3-line block ×3, first 2 shown]
	.loc	1 32 35                         ; matmul.py:32:35
	v_wmma_f32_16x16x16_f16 v[72:79], v[176:179], v[148:151], v[72:79]
	v_wmma_f32_16x16x16_f16 v[88:95], v[164:167], v[148:151], v[88:95]
	;; [unrolled: 1-line block ×13, first 2 shown]
	s_wait_dscnt 0x1
	v_wmma_f32_16x16x16_f16 v[8:15], v[168:171], v[140:143], v[8:15]
	s_wait_dscnt 0x0
	v_wmma_f32_16x16x16_f16 v[24:31], v[188:191], v[140:143], v[24:31]
	v_wmma_f32_16x16x16_f16 v[40:47], v[168:171], v[136:139], v[40:47]
	;; [unrolled: 1-line block ×7, first 2 shown]
	.loc	1 29 22                         ; matmul.py:29:22
	s_cbranch_scc0 .LBB0_99
.LBB0_3:                                ; =>This Inner Loop Header: Depth=1
	.loc	1 30 51                         ; matmul.py:30:51
	scratch_load_b32 v128, off, off         ; 4-byte Folded Reload
	s_wait_loadcnt 0x0
	v_cmp_gt_i32_e32 vcc_lo, s17, v128
	v_mov_b32_e32 v128, 0
	.loc	1 30 20 is_stmt 0               ; matmul.py:30:20
	s_and_saveexec_b32 s3, vcc_lo
	s_cbranch_execz .LBB0_5
; %bb.4:                                ;   in Loop: Header=BB0_3 Depth=1
	.loc	1 30 59                         ; matmul.py:30:59
	s_wait_alu depctr_sa_sdst(0)
	v_add_co_u32 v128, s2, s4, v254
	s_wait_alu depctr_va_sdst(0)
	v_add_co_ci_u32_e64 v129, null, s5, v255, s2
	.loc	1 30 20                         ; matmul.py:30:20
	global_load_u16 v128, v[128:129], off
.LBB0_5:                                ;   in Loop: Header=BB0_3 Depth=1
	.loc	1 0 20                          ; matmul.py:0:20
	s_wait_alu depctr_sa_sdst(0)
	s_or_b32 exec_lo, exec_lo, s3
	v_dual_mov_b32 v129, 0 :: v_dual_mov_b32 v130, 0
	.loc	1 30 20                         ; matmul.py:30:20
	s_and_saveexec_b32 s3, vcc_lo
	s_cbranch_execz .LBB0_7
; %bb.6:                                ;   in Loop: Header=BB0_3 Depth=1
	.loc	1 30 59                         ; matmul.py:30:59
	v_add_co_u32 v130, s2, s4, v252
	s_wait_alu depctr_va_sdst(0)
	v_add_co_ci_u32_e64 v131, null, s5, v253, s2
	.loc	1 30 20                         ; matmul.py:30:20
	global_load_u16 v130, v[130:131], off
.LBB0_7:                                ;   in Loop: Header=BB0_3 Depth=1
	.loc	1 0 20                          ; matmul.py:0:20
	s_wait_alu depctr_sa_sdst(0)
	s_or_b32 exec_lo, exec_lo, s3
	.loc	1 30 20                         ; matmul.py:30:20
	s_and_saveexec_b32 s3, vcc_lo
	s_cbranch_execz .LBB0_9
; %bb.8:                                ;   in Loop: Header=BB0_3 Depth=1
	.loc	1 30 59                         ; matmul.py:30:59
	v_add_co_u32 v131, s2, s4, v250
	s_wait_alu depctr_va_sdst(0)
	v_add_co_ci_u32_e64 v132, null, s5, v251, s2
	.loc	1 30 20                         ; matmul.py:30:20
	global_load_u16 v129, v[131:132], off
.LBB0_9:                                ;   in Loop: Header=BB0_3 Depth=1
	.loc	1 0 20                          ; matmul.py:0:20
	s_wait_alu depctr_sa_sdst(0)
	s_or_b32 exec_lo, exec_lo, s3
	v_dual_mov_b32 v131, 0 :: v_dual_mov_b32 v132, 0
	.loc	1 30 20                         ; matmul.py:30:20
	s_and_saveexec_b32 s3, vcc_lo
	s_cbranch_execz .LBB0_11
; %bb.10:                               ;   in Loop: Header=BB0_3 Depth=1
	.loc	1 30 59                         ; matmul.py:30:59
	v_add_co_u32 v132, s2, s4, v248
	s_wait_alu depctr_va_sdst(0)
	v_add_co_ci_u32_e64 v133, null, s5, v249, s2
	.loc	1 30 20                         ; matmul.py:30:20
	global_load_u16 v132, v[132:133], off
.LBB0_11:                               ;   in Loop: Header=BB0_3 Depth=1
	.loc	1 0 20                          ; matmul.py:0:20
	s_wait_alu depctr_sa_sdst(0)
	s_or_b32 exec_lo, exec_lo, s3
	.loc	1 30 20                         ; matmul.py:30:20
	s_and_saveexec_b32 s3, vcc_lo
	s_cbranch_execz .LBB0_13
; %bb.12:                               ;   in Loop: Header=BB0_3 Depth=1
	.loc	1 30 59                         ; matmul.py:30:59
	v_add_co_u32 v133, s2, s4, v246
	s_wait_alu depctr_va_sdst(0)
	v_add_co_ci_u32_e64 v134, null, s5, v247, s2
	.loc	1 30 20                         ; matmul.py:30:20
	global_load_u16 v131, v[133:134], off
.LBB0_13:                               ;   in Loop: Header=BB0_3 Depth=1
	.loc	1 0 20                          ; matmul.py:0:20
	s_wait_alu depctr_sa_sdst(0)
	s_or_b32 exec_lo, exec_lo, s3
	v_dual_mov_b32 v133, 0 :: v_dual_mov_b32 v134, 0
	.loc	1 30 20                         ; matmul.py:30:20
	s_and_saveexec_b32 s3, vcc_lo
	s_cbranch_execz .LBB0_15
; %bb.14:                               ;   in Loop: Header=BB0_3 Depth=1
	.loc	1 30 59                         ; matmul.py:30:59
	v_add_co_u32 v134, s2, s4, v244
	s_wait_alu depctr_va_sdst(0)
	v_add_co_ci_u32_e64 v135, null, s5, v245, s2
	.loc	1 30 20                         ; matmul.py:30:20
	global_load_u16 v134, v[134:135], off
.LBB0_15:                               ;   in Loop: Header=BB0_3 Depth=1
	.loc	1 0 20                          ; matmul.py:0:20
	s_wait_alu depctr_sa_sdst(0)
	s_or_b32 exec_lo, exec_lo, s3
	.loc	1 30 20                         ; matmul.py:30:20
	s_and_saveexec_b32 s3, vcc_lo
	s_cbranch_execz .LBB0_17
; %bb.16:                               ;   in Loop: Header=BB0_3 Depth=1
	.loc	1 30 59                         ; matmul.py:30:59
	v_add_co_u32 v135, s2, s4, v242
	s_wait_alu depctr_va_sdst(0)
	v_add_co_ci_u32_e64 v136, null, s5, v243, s2
	.loc	1 30 20                         ; matmul.py:30:20
	global_load_u16 v133, v[135:136], off
.LBB0_17:                               ;   in Loop: Header=BB0_3 Depth=1
	.loc	1 0 20                          ; matmul.py:0:20
	s_wait_alu depctr_sa_sdst(0)
	s_or_b32 exec_lo, exec_lo, s3
	v_dual_mov_b32 v135, 0 :: v_dual_mov_b32 v136, 0
	.loc	1 30 20                         ; matmul.py:30:20
	s_and_saveexec_b32 s3, vcc_lo
	s_cbranch_execz .LBB0_19
; %bb.18:                               ;   in Loop: Header=BB0_3 Depth=1
	.loc	1 30 59                         ; matmul.py:30:59
	v_add_co_u32 v136, s2, s4, v240
	s_wait_alu depctr_va_sdst(0)
	v_add_co_ci_u32_e64 v137, null, s5, v241, s2
	.loc	1 30 20                         ; matmul.py:30:20
	global_load_u16 v136, v[136:137], off
.LBB0_19:                               ;   in Loop: Header=BB0_3 Depth=1
	.loc	1 0 20                          ; matmul.py:0:20
	s_wait_alu depctr_sa_sdst(0)
	s_or_b32 exec_lo, exec_lo, s3
	.loc	1 30 20                         ; matmul.py:30:20
	s_and_saveexec_b32 s3, vcc_lo
	s_cbranch_execz .LBB0_21
; %bb.20:                               ;   in Loop: Header=BB0_3 Depth=1
	.loc	1 30 59                         ; matmul.py:30:59
	v_add_co_u32 v137, s2, s4, v238
	s_wait_alu depctr_va_sdst(0)
	v_add_co_ci_u32_e64 v138, null, s5, v239, s2
	.loc	1 30 20                         ; matmul.py:30:20
	global_load_u16 v135, v[137:138], off
.LBB0_21:                               ;   in Loop: Header=BB0_3 Depth=1
	.loc	1 0 20                          ; matmul.py:0:20
	s_wait_alu depctr_sa_sdst(0)
	s_or_b32 exec_lo, exec_lo, s3
	v_dual_mov_b32 v137, 0 :: v_dual_mov_b32 v138, 0
	.loc	1 30 20                         ; matmul.py:30:20
	s_and_saveexec_b32 s3, vcc_lo
	s_cbranch_execz .LBB0_23
; %bb.22:                               ;   in Loop: Header=BB0_3 Depth=1
	.loc	1 30 59                         ; matmul.py:30:59
	v_add_co_u32 v138, s2, s4, v236
	s_wait_alu depctr_va_sdst(0)
	v_add_co_ci_u32_e64 v139, null, s5, v237, s2
	.loc	1 30 20                         ; matmul.py:30:20
	global_load_u16 v138, v[138:139], off
.LBB0_23:                               ;   in Loop: Header=BB0_3 Depth=1
	.loc	1 0 20                          ; matmul.py:0:20
	s_wait_alu depctr_sa_sdst(0)
	s_or_b32 exec_lo, exec_lo, s3
	.loc	1 30 20                         ; matmul.py:30:20
	s_and_saveexec_b32 s3, vcc_lo
	s_cbranch_execz .LBB0_25
; %bb.24:                               ;   in Loop: Header=BB0_3 Depth=1
	.loc	1 30 59                         ; matmul.py:30:59
	v_add_co_u32 v139, s2, s4, v234
	s_wait_alu depctr_va_sdst(0)
	v_add_co_ci_u32_e64 v140, null, s5, v235, s2
	.loc	1 30 20                         ; matmul.py:30:20
	global_load_u16 v137, v[139:140], off
.LBB0_25:                               ;   in Loop: Header=BB0_3 Depth=1
	.loc	1 0 20                          ; matmul.py:0:20
	s_wait_alu depctr_sa_sdst(0)
	s_or_b32 exec_lo, exec_lo, s3
	v_dual_mov_b32 v139, 0 :: v_dual_mov_b32 v140, 0
	.loc	1 30 20                         ; matmul.py:30:20
	s_and_saveexec_b32 s3, vcc_lo
	s_cbranch_execz .LBB0_27
; %bb.26:                               ;   in Loop: Header=BB0_3 Depth=1
	.loc	1 30 59                         ; matmul.py:30:59
	v_add_co_u32 v140, s2, s4, v232
	s_wait_alu depctr_va_sdst(0)
	v_add_co_ci_u32_e64 v141, null, s5, v233, s2
	.loc	1 30 20                         ; matmul.py:30:20
	global_load_u16 v140, v[140:141], off
.LBB0_27:                               ;   in Loop: Header=BB0_3 Depth=1
	.loc	1 0 20                          ; matmul.py:0:20
	s_wait_alu depctr_sa_sdst(0)
	s_or_b32 exec_lo, exec_lo, s3
	.loc	1 30 20                         ; matmul.py:30:20
	s_and_saveexec_b32 s3, vcc_lo
	s_cbranch_execz .LBB0_29
; %bb.28:                               ;   in Loop: Header=BB0_3 Depth=1
	.loc	1 30 59                         ; matmul.py:30:59
	v_add_co_u32 v141, s2, s4, v230
	s_wait_alu depctr_va_sdst(0)
	v_add_co_ci_u32_e64 v142, null, s5, v231, s2
	.loc	1 30 20                         ; matmul.py:30:20
	global_load_u16 v139, v[141:142], off
.LBB0_29:                               ;   in Loop: Header=BB0_3 Depth=1
	.loc	1 0 20                          ; matmul.py:0:20
	s_wait_alu depctr_sa_sdst(0)
	s_or_b32 exec_lo, exec_lo, s3
	v_dual_mov_b32 v141, 0 :: v_dual_mov_b32 v142, 0
	.loc	1 30 20                         ; matmul.py:30:20
	s_and_saveexec_b32 s3, vcc_lo
	s_cbranch_execz .LBB0_31
; %bb.30:                               ;   in Loop: Header=BB0_3 Depth=1
	.loc	1 30 59                         ; matmul.py:30:59
	v_add_co_u32 v142, s2, s4, v228
	s_wait_alu depctr_va_sdst(0)
	v_add_co_ci_u32_e64 v143, null, s5, v229, s2
	.loc	1 30 20                         ; matmul.py:30:20
	global_load_u16 v142, v[142:143], off
.LBB0_31:                               ;   in Loop: Header=BB0_3 Depth=1
	.loc	1 0 20                          ; matmul.py:0:20
	s_wait_alu depctr_sa_sdst(0)
	s_or_b32 exec_lo, exec_lo, s3
	.loc	1 30 20                         ; matmul.py:30:20
	s_and_saveexec_b32 s3, vcc_lo
	s_cbranch_execz .LBB0_33
; %bb.32:                               ;   in Loop: Header=BB0_3 Depth=1
	.loc	1 30 59                         ; matmul.py:30:59
	v_add_co_u32 v143, s2, s4, v226
	s_wait_alu depctr_va_sdst(0)
	v_add_co_ci_u32_e64 v144, null, s5, v227, s2
	.loc	1 30 20                         ; matmul.py:30:20
	global_load_u16 v141, v[143:144], off
.LBB0_33:                               ;   in Loop: Header=BB0_3 Depth=1
	.loc	1 0 20                          ; matmul.py:0:20
	s_wait_alu depctr_sa_sdst(0)
	s_or_b32 exec_lo, exec_lo, s3
	v_dual_mov_b32 v143, 0 :: v_dual_mov_b32 v144, 0
	.loc	1 30 20                         ; matmul.py:30:20
	s_and_saveexec_b32 s3, vcc_lo
	s_cbranch_execz .LBB0_35
; %bb.34:                               ;   in Loop: Header=BB0_3 Depth=1
	.loc	1 30 59                         ; matmul.py:30:59
	v_add_co_u32 v144, s2, s4, v224
	s_wait_alu depctr_va_sdst(0)
	v_add_co_ci_u32_e64 v145, null, s5, v225, s2
	.loc	1 30 20                         ; matmul.py:30:20
	global_load_u16 v144, v[144:145], off
.LBB0_35:                               ;   in Loop: Header=BB0_3 Depth=1
	.loc	1 0 20                          ; matmul.py:0:20
	s_wait_alu depctr_sa_sdst(0)
	s_or_b32 exec_lo, exec_lo, s3
	.loc	1 30 20                         ; matmul.py:30:20
	s_and_saveexec_b32 s3, vcc_lo
	s_cbranch_execz .LBB0_37
; %bb.36:                               ;   in Loop: Header=BB0_3 Depth=1
	.loc	1 30 59                         ; matmul.py:30:59
	v_add_co_u32 v145, s2, s4, v222
	s_wait_alu depctr_va_sdst(0)
	v_add_co_ci_u32_e64 v146, null, s5, v223, s2
	.loc	1 30 20                         ; matmul.py:30:20
	global_load_u16 v143, v[145:146], off
.LBB0_37:                               ;   in Loop: Header=BB0_3 Depth=1
	.loc	1 0 20                          ; matmul.py:0:20
	s_wait_alu depctr_sa_sdst(0)
	s_or_b32 exec_lo, exec_lo, s3
	v_dual_mov_b32 v145, 0 :: v_dual_mov_b32 v146, 0
	.loc	1 30 20                         ; matmul.py:30:20
	s_and_saveexec_b32 s3, vcc_lo
	s_cbranch_execz .LBB0_39
; %bb.38:                               ;   in Loop: Header=BB0_3 Depth=1
	.loc	1 30 59                         ; matmul.py:30:59
	v_add_co_u32 v146, s2, s4, v220
	s_wait_alu depctr_va_sdst(0)
	v_add_co_ci_u32_e64 v147, null, s5, v221, s2
	.loc	1 30 20                         ; matmul.py:30:20
	global_load_u16 v146, v[146:147], off
.LBB0_39:                               ;   in Loop: Header=BB0_3 Depth=1
	.loc	1 0 20                          ; matmul.py:0:20
	s_wait_alu depctr_sa_sdst(0)
	s_or_b32 exec_lo, exec_lo, s3
	.loc	1 30 20                         ; matmul.py:30:20
	s_and_saveexec_b32 s3, vcc_lo
	s_cbranch_execz .LBB0_41
; %bb.40:                               ;   in Loop: Header=BB0_3 Depth=1
	.loc	1 30 59                         ; matmul.py:30:59
	v_add_co_u32 v147, s2, s4, v218
	s_wait_alu depctr_va_sdst(0)
	v_add_co_ci_u32_e64 v148, null, s5, v219, s2
	.loc	1 30 20                         ; matmul.py:30:20
	global_load_u16 v145, v[147:148], off
.LBB0_41:                               ;   in Loop: Header=BB0_3 Depth=1
	.loc	1 0 20                          ; matmul.py:0:20
	s_wait_alu depctr_sa_sdst(0)
	s_or_b32 exec_lo, exec_lo, s3
	v_dual_mov_b32 v147, 0 :: v_dual_mov_b32 v148, 0
	.loc	1 30 20                         ; matmul.py:30:20
	s_and_saveexec_b32 s3, vcc_lo
	s_cbranch_execz .LBB0_43
; %bb.42:                               ;   in Loop: Header=BB0_3 Depth=1
	.loc	1 30 59                         ; matmul.py:30:59
	v_add_co_u32 v148, s2, s4, v216
	s_wait_alu depctr_va_sdst(0)
	v_add_co_ci_u32_e64 v149, null, s5, v217, s2
	.loc	1 30 20                         ; matmul.py:30:20
	global_load_u16 v148, v[148:149], off
.LBB0_43:                               ;   in Loop: Header=BB0_3 Depth=1
	.loc	1 0 20                          ; matmul.py:0:20
	s_wait_alu depctr_sa_sdst(0)
	s_or_b32 exec_lo, exec_lo, s3
	.loc	1 30 20                         ; matmul.py:30:20
	s_and_saveexec_b32 s3, vcc_lo
	s_cbranch_execz .LBB0_45
; %bb.44:                               ;   in Loop: Header=BB0_3 Depth=1
	.loc	1 30 59                         ; matmul.py:30:59
	v_add_co_u32 v149, s2, s4, v214
	s_wait_alu depctr_va_sdst(0)
	v_add_co_ci_u32_e64 v150, null, s5, v215, s2
	.loc	1 30 20                         ; matmul.py:30:20
	global_load_u16 v147, v[149:150], off
.LBB0_45:                               ;   in Loop: Header=BB0_3 Depth=1
	.loc	1 0 20                          ; matmul.py:0:20
	s_wait_alu depctr_sa_sdst(0)
	s_or_b32 exec_lo, exec_lo, s3
	v_dual_mov_b32 v149, 0 :: v_dual_mov_b32 v150, 0
	.loc	1 30 20                         ; matmul.py:30:20
	s_and_saveexec_b32 s3, vcc_lo
	s_cbranch_execz .LBB0_47
; %bb.46:                               ;   in Loop: Header=BB0_3 Depth=1
	.loc	1 30 59                         ; matmul.py:30:59
	v_add_co_u32 v150, s2, s4, v212
	s_wait_alu depctr_va_sdst(0)
	v_add_co_ci_u32_e64 v151, null, s5, v213, s2
	.loc	1 30 20                         ; matmul.py:30:20
	global_load_u16 v150, v[150:151], off
.LBB0_47:                               ;   in Loop: Header=BB0_3 Depth=1
	.loc	1 0 20                          ; matmul.py:0:20
	s_wait_alu depctr_sa_sdst(0)
	s_or_b32 exec_lo, exec_lo, s3
	.loc	1 30 20                         ; matmul.py:30:20
	s_and_saveexec_b32 s3, vcc_lo
	s_cbranch_execz .LBB0_49
; %bb.48:                               ;   in Loop: Header=BB0_3 Depth=1
	.loc	1 30 59                         ; matmul.py:30:59
	v_add_co_u32 v151, s2, s4, v210
	s_wait_alu depctr_va_sdst(0)
	v_add_co_ci_u32_e64 v152, null, s5, v211, s2
	.loc	1 30 20                         ; matmul.py:30:20
	global_load_u16 v149, v[151:152], off
.LBB0_49:                               ;   in Loop: Header=BB0_3 Depth=1
	.loc	1 0 20                          ; matmul.py:0:20
	s_wait_alu depctr_sa_sdst(0)
	s_or_b32 exec_lo, exec_lo, s3
	v_dual_mov_b32 v151, 0 :: v_dual_mov_b32 v152, 0
	.loc	1 30 20                         ; matmul.py:30:20
	s_and_saveexec_b32 s3, vcc_lo
	s_cbranch_execz .LBB0_51
; %bb.50:                               ;   in Loop: Header=BB0_3 Depth=1
	.loc	1 30 59                         ; matmul.py:30:59
	v_add_co_u32 v152, s2, s4, v208
	s_wait_alu depctr_va_sdst(0)
	v_add_co_ci_u32_e64 v153, null, s5, v209, s2
	.loc	1 30 20                         ; matmul.py:30:20
	global_load_u16 v152, v[152:153], off
.LBB0_51:                               ;   in Loop: Header=BB0_3 Depth=1
	.loc	1 0 20                          ; matmul.py:0:20
	s_wait_alu depctr_sa_sdst(0)
	s_or_b32 exec_lo, exec_lo, s3
	.loc	1 30 20                         ; matmul.py:30:20
	s_and_saveexec_b32 s3, vcc_lo
	s_cbranch_execz .LBB0_53
; %bb.52:                               ;   in Loop: Header=BB0_3 Depth=1
	.loc	1 30 59                         ; matmul.py:30:59
	v_add_co_u32 v153, s2, s4, v206
	s_wait_alu depctr_va_sdst(0)
	v_add_co_ci_u32_e64 v154, null, s5, v207, s2
	.loc	1 30 20                         ; matmul.py:30:20
	global_load_u16 v151, v[153:154], off
.LBB0_53:                               ;   in Loop: Header=BB0_3 Depth=1
	.loc	1 0 20                          ; matmul.py:0:20
	s_wait_alu depctr_sa_sdst(0)
	s_or_b32 exec_lo, exec_lo, s3
	v_dual_mov_b32 v153, 0 :: v_dual_mov_b32 v154, 0
	.loc	1 30 20                         ; matmul.py:30:20
	s_and_saveexec_b32 s3, vcc_lo
	s_cbranch_execz .LBB0_55
; %bb.54:                               ;   in Loop: Header=BB0_3 Depth=1
	.loc	1 30 59                         ; matmul.py:30:59
	v_add_co_u32 v154, s2, s4, v204
	s_wait_alu depctr_va_sdst(0)
	v_add_co_ci_u32_e64 v155, null, s5, v205, s2
	.loc	1 30 20                         ; matmul.py:30:20
	global_load_u16 v154, v[154:155], off
.LBB0_55:                               ;   in Loop: Header=BB0_3 Depth=1
	.loc	1 0 20                          ; matmul.py:0:20
	s_wait_alu depctr_sa_sdst(0)
	s_or_b32 exec_lo, exec_lo, s3
	.loc	1 30 20                         ; matmul.py:30:20
	s_and_saveexec_b32 s3, vcc_lo
	s_cbranch_execz .LBB0_57
; %bb.56:                               ;   in Loop: Header=BB0_3 Depth=1
	.loc	1 30 59                         ; matmul.py:30:59
	v_add_co_u32 v155, s2, s4, v202
	s_wait_alu depctr_va_sdst(0)
	v_add_co_ci_u32_e64 v156, null, s5, v203, s2
	.loc	1 30 20                         ; matmul.py:30:20
	global_load_u16 v153, v[155:156], off
.LBB0_57:                               ;   in Loop: Header=BB0_3 Depth=1
	.loc	1 0 20                          ; matmul.py:0:20
	s_wait_alu depctr_sa_sdst(0)
	s_or_b32 exec_lo, exec_lo, s3
	v_dual_mov_b32 v155, 0 :: v_dual_mov_b32 v156, 0
	.loc	1 30 20                         ; matmul.py:30:20
	s_and_saveexec_b32 s3, vcc_lo
	s_cbranch_execz .LBB0_59
; %bb.58:                               ;   in Loop: Header=BB0_3 Depth=1
	.loc	1 30 59                         ; matmul.py:30:59
	v_add_co_u32 v156, s2, s4, v200
	s_wait_alu depctr_va_sdst(0)
	v_add_co_ci_u32_e64 v157, null, s5, v201, s2
	.loc	1 30 20                         ; matmul.py:30:20
	global_load_u16 v156, v[156:157], off
.LBB0_59:                               ;   in Loop: Header=BB0_3 Depth=1
	.loc	1 0 20                          ; matmul.py:0:20
	s_wait_alu depctr_sa_sdst(0)
	s_or_b32 exec_lo, exec_lo, s3
	.loc	1 30 20                         ; matmul.py:30:20
	s_and_saveexec_b32 s3, vcc_lo
	s_cbranch_execz .LBB0_61
; %bb.60:                               ;   in Loop: Header=BB0_3 Depth=1
	.loc	1 30 59                         ; matmul.py:30:59
	v_add_co_u32 v157, s2, s4, v198
	s_wait_alu depctr_va_sdst(0)
	v_add_co_ci_u32_e64 v158, null, s5, v199, s2
	.loc	1 30 20                         ; matmul.py:30:20
	global_load_u16 v155, v[157:158], off
.LBB0_61:                               ;   in Loop: Header=BB0_3 Depth=1
	.loc	1 0 20                          ; matmul.py:0:20
	s_wait_alu depctr_sa_sdst(0)
	s_or_b32 exec_lo, exec_lo, s3
	v_dual_mov_b32 v157, 0 :: v_dual_mov_b32 v158, 0
	.loc	1 30 20                         ; matmul.py:30:20
	s_and_saveexec_b32 s3, vcc_lo
	s_cbranch_execz .LBB0_63
; %bb.62:                               ;   in Loop: Header=BB0_3 Depth=1
	.loc	1 30 59                         ; matmul.py:30:59
	v_add_co_u32 v158, s2, s4, v196
	s_wait_alu depctr_va_sdst(0)
	v_add_co_ci_u32_e64 v159, null, s5, v197, s2
	.loc	1 30 20                         ; matmul.py:30:20
	global_load_u16 v158, v[158:159], off
.LBB0_63:                               ;   in Loop: Header=BB0_3 Depth=1
	.loc	1 0 20                          ; matmul.py:0:20
	s_wait_alu depctr_sa_sdst(0)
	s_or_b32 exec_lo, exec_lo, s3
	.loc	1 30 20                         ; matmul.py:30:20
	s_and_saveexec_b32 s3, vcc_lo
	s_cbranch_execz .LBB0_65
; %bb.64:                               ;   in Loop: Header=BB0_3 Depth=1
	.loc	1 30 59                         ; matmul.py:30:59
	v_add_co_u32 v164, s2, s4, v194
	s_wait_alu depctr_va_sdst(0)
	v_add_co_ci_u32_e64 v165, null, s5, v195, s2
	.loc	1 30 20                         ; matmul.py:30:20
	global_load_u16 v157, v[164:165], off
.LBB0_65:                               ;   in Loop: Header=BB0_3 Depth=1
	.loc	1 0 20                          ; matmul.py:0:20
	s_wait_alu depctr_sa_sdst(0)
	s_or_b32 exec_lo, exec_lo, s3
	v_dual_mov_b32 v164, 0 :: v_dual_mov_b32 v159, 0
	.loc	1 30 20                         ; matmul.py:30:20
	s_and_saveexec_b32 s2, vcc_lo
	s_cbranch_execnz .LBB0_82
; %bb.66:                               ;   in Loop: Header=BB0_3 Depth=1
	.loc	1 0 20                          ; matmul.py:0:20
	s_wait_alu depctr_sa_sdst(0)
	s_or_b32 exec_lo, exec_lo, s2
	.loc	1 31 51 is_stmt 1               ; matmul.py:31:51
	s_cmp_ge_i32 s18, s17
	.loc	1 31 20 is_stmt 0               ; matmul.py:31:20
	s_cbranch_scc0 .LBB0_83
.LBB0_67:                               ;   in Loop: Header=BB0_3 Depth=1
	.loc	1 0 20                          ; matmul.py:0:20
	v_dual_mov_b32 v165, 0 :: v_dual_mov_b32 v166, 0
	.loc	1 31 51                         ; matmul.py:31:51
	s_cmp_ge_i32 s19, s17
	.loc	1 31 20                         ; matmul.py:31:20
	s_cbranch_scc0 .LBB0_84
.LBB0_68:                               ;   in Loop: Header=BB0_3 Depth=1
	.loc	1 31 51                         ; matmul.py:31:51
	s_cmp_ge_i32 s20, s17
	.loc	1 31 20                         ; matmul.py:31:20
	s_cbranch_scc0 .LBB0_85
.LBB0_69:                               ;   in Loop: Header=BB0_3 Depth=1
	.loc	1 0 20                          ; matmul.py:0:20
	v_dual_mov_b32 v167, 0 :: v_dual_mov_b32 v168, 0
	.loc	1 31 51                         ; matmul.py:31:51
	s_cmp_ge_i32 s21, s17
	.loc	1 31 20                         ; matmul.py:31:20
	s_cbranch_scc0 .LBB0_86
.LBB0_70:                               ;   in Loop: Header=BB0_3 Depth=1
	.loc	1 31 51                         ; matmul.py:31:51
	s_cmp_ge_i32 s22, s17
	.loc	1 31 20                         ; matmul.py:31:20
	s_cbranch_scc0 .LBB0_87
.LBB0_71:                               ;   in Loop: Header=BB0_3 Depth=1
	.loc	1 0 20                          ; matmul.py:0:20
	v_dual_mov_b32 v169, 0 :: v_dual_mov_b32 v170, 0
	.loc	1 31 51                         ; matmul.py:31:51
	s_cmp_ge_i32 s23, s17
	.loc	1 31 20                         ; matmul.py:31:20
	s_cbranch_scc0 .LBB0_88
.LBB0_72:                               ;   in Loop: Header=BB0_3 Depth=1
	.loc	1 31 51                         ; matmul.py:31:51
	s_cmp_ge_i32 s24, s17
	.loc	1 31 20                         ; matmul.py:31:20
	s_cbranch_scc0 .LBB0_89
.LBB0_73:                               ;   in Loop: Header=BB0_3 Depth=1
	.loc	1 0 20                          ; matmul.py:0:20
	v_dual_mov_b32 v171, 0 :: v_dual_mov_b32 v172, 0
	.loc	1 31 51                         ; matmul.py:31:51
	s_cmp_ge_i32 s25, s17
	.loc	1 31 20                         ; matmul.py:31:20
	s_cbranch_scc0 .LBB0_90
.LBB0_74:                               ;   in Loop: Header=BB0_3 Depth=1
	.loc	1 31 51                         ; matmul.py:31:51
	s_cmp_ge_i32 s26, s17
	.loc	1 31 20                         ; matmul.py:31:20
	s_cbranch_scc0 .LBB0_91
.LBB0_75:                               ;   in Loop: Header=BB0_3 Depth=1
	.loc	1 0 20                          ; matmul.py:0:20
	v_dual_mov_b32 v173, 0 :: v_dual_mov_b32 v174, 0
	.loc	1 31 51                         ; matmul.py:31:51
	s_cmp_ge_i32 s27, s17
	.loc	1 31 20                         ; matmul.py:31:20
	s_cbranch_scc0 .LBB0_92
.LBB0_76:                               ;   in Loop: Header=BB0_3 Depth=1
	.loc	1 31 51                         ; matmul.py:31:51
	s_cmp_ge_i32 s28, s17
	.loc	1 31 20                         ; matmul.py:31:20
	s_cbranch_scc0 .LBB0_93
.LBB0_77:                               ;   in Loop: Header=BB0_3 Depth=1
	.loc	1 0 20                          ; matmul.py:0:20
	v_dual_mov_b32 v175, 0 :: v_dual_mov_b32 v176, 0
	.loc	1 31 51                         ; matmul.py:31:51
	s_cmp_ge_i32 s29, s17
	.loc	1 31 20                         ; matmul.py:31:20
	s_cbranch_scc0 .LBB0_94
.LBB0_78:                               ;   in Loop: Header=BB0_3 Depth=1
	.loc	1 31 51                         ; matmul.py:31:51
	s_cmp_ge_i32 s30, s17
	.loc	1 31 20                         ; matmul.py:31:20
	s_cbranch_scc0 .LBB0_95
.LBB0_79:                               ;   in Loop: Header=BB0_3 Depth=1
	.loc	1 0 20                          ; matmul.py:0:20
	v_dual_mov_b32 v177, 0 :: v_dual_mov_b32 v178, 0
	.loc	1 31 51                         ; matmul.py:31:51
	s_cmp_ge_i32 s31, s17
	.loc	1 31 20                         ; matmul.py:31:20
	s_cbranch_scc0 .LBB0_96
.LBB0_80:                               ;   in Loop: Header=BB0_3 Depth=1
	.loc	1 31 51                         ; matmul.py:31:51
	s_cmp_ge_i32 s33, s17
	.loc	1 31 20                         ; matmul.py:31:20
	s_cbranch_scc0 .LBB0_97
.LBB0_81:                               ;   in Loop: Header=BB0_3 Depth=1
	.loc	1 0 20                          ; matmul.py:0:20
	v_mov_b32_e32 v179, 0
	.loc	1 31 51                         ; matmul.py:31:51
	s_cmp_ge_i32 s34, s17
	.loc	1 31 20                         ; matmul.py:31:20
	s_cbranch_scc1 .LBB0_2
	s_branch .LBB0_98
.LBB0_82:                               ;   in Loop: Header=BB0_3 Depth=1
	.loc	1 30 59 is_stmt 1               ; matmul.py:30:59
	v_add_co_u32 v165, vcc_lo, s4, v192
	s_wait_alu depctr_va_vcc(0)
	v_add_co_ci_u32_e64 v166, null, s5, v193, vcc_lo
	.loc	1 30 20 is_stmt 0               ; matmul.py:30:20
	global_load_u16 v159, v[165:166], off
	s_wait_alu depctr_sa_sdst(0)
	s_or_b32 exec_lo, exec_lo, s2
	.loc	1 31 51 is_stmt 1               ; matmul.py:31:51
	s_cmp_ge_i32 s18, s17
	.loc	1 31 20 is_stmt 0               ; matmul.py:31:20
	s_cbranch_scc1 .LBB0_67
.LBB0_83:                               ;   in Loop: Header=BB0_3 Depth=1
	.loc	1 0 20                          ; matmul.py:0:20
	scratch_load_b64 v[164:165], off, off offset:128 ; 8-byte Folded Reload
	.loc	1 30 59 is_stmt 1               ; matmul.py:30:59
	s_wait_loadcnt 0x0
	v_add_co_u32 v164, vcc_lo, s6, v164
	s_wait_alu depctr_va_vcc(0)
	v_add_co_ci_u32_e64 v165, null, s7, v165, vcc_lo
	.loc	1 31 20                         ; matmul.py:31:20
	global_load_u16 v164, v[164:165], off
	v_dual_mov_b32 v165, 0 :: v_dual_mov_b32 v166, 0
	.loc	1 31 51 is_stmt 0               ; matmul.py:31:51
	s_cmp_ge_i32 s19, s17
	.loc	1 31 20                         ; matmul.py:31:20
	s_cbranch_scc1 .LBB0_68
.LBB0_84:                               ;   in Loop: Header=BB0_3 Depth=1
	.loc	1 0 20                          ; matmul.py:0:20
	scratch_load_b64 v[166:167], off, off offset:120 ; 8-byte Folded Reload
	.loc	1 30 59 is_stmt 1               ; matmul.py:30:59
	s_wait_loadcnt 0x0
	v_add_co_u32 v166, vcc_lo, s6, v166
	s_wait_alu depctr_va_vcc(0)
	v_add_co_ci_u32_e64 v167, null, s7, v167, vcc_lo
	.loc	1 31 20                         ; matmul.py:31:20
	global_load_u16 v166, v[166:167], off
	.loc	1 31 51 is_stmt 0               ; matmul.py:31:51
	s_cmp_ge_i32 s20, s17
	.loc	1 31 20                         ; matmul.py:31:20
	s_cbranch_scc1 .LBB0_69
.LBB0_85:                               ;   in Loop: Header=BB0_3 Depth=1
	.loc	1 0 20                          ; matmul.py:0:20
	scratch_load_b64 v[167:168], off, off offset:112 ; 8-byte Folded Reload
	.loc	1 30 59 is_stmt 1               ; matmul.py:30:59
	s_wait_loadcnt 0x0
	v_add_co_u32 v167, vcc_lo, s6, v167
	s_wait_alu depctr_va_vcc(0)
	v_add_co_ci_u32_e64 v168, null, s7, v168, vcc_lo
	.loc	1 31 20                         ; matmul.py:31:20
	global_load_u16 v165, v[167:168], off
	v_dual_mov_b32 v167, 0 :: v_dual_mov_b32 v168, 0
	.loc	1 31 51 is_stmt 0               ; matmul.py:31:51
	s_cmp_ge_i32 s21, s17
	.loc	1 31 20                         ; matmul.py:31:20
	s_cbranch_scc1 .LBB0_70
.LBB0_86:                               ;   in Loop: Header=BB0_3 Depth=1
	.loc	1 0 20                          ; matmul.py:0:20
	scratch_load_b64 v[168:169], off, off offset:104 ; 8-byte Folded Reload
	.loc	1 30 59 is_stmt 1               ; matmul.py:30:59
	s_wait_loadcnt 0x0
	v_add_co_u32 v168, vcc_lo, s6, v168
	s_wait_alu depctr_va_vcc(0)
	v_add_co_ci_u32_e64 v169, null, s7, v169, vcc_lo
	.loc	1 31 20                         ; matmul.py:31:20
	global_load_u16 v168, v[168:169], off
	.loc	1 31 51 is_stmt 0               ; matmul.py:31:51
	s_cmp_ge_i32 s22, s17
	.loc	1 31 20                         ; matmul.py:31:20
	s_cbranch_scc1 .LBB0_71
.LBB0_87:                               ;   in Loop: Header=BB0_3 Depth=1
	.loc	1 0 20                          ; matmul.py:0:20
	scratch_load_b64 v[169:170], off, off offset:96 ; 8-byte Folded Reload
	.loc	1 30 59 is_stmt 1               ; matmul.py:30:59
	s_wait_loadcnt 0x0
	v_add_co_u32 v169, vcc_lo, s6, v169
	s_wait_alu depctr_va_vcc(0)
	v_add_co_ci_u32_e64 v170, null, s7, v170, vcc_lo
	.loc	1 31 20                         ; matmul.py:31:20
	global_load_u16 v167, v[169:170], off
	v_dual_mov_b32 v169, 0 :: v_dual_mov_b32 v170, 0
	.loc	1 31 51 is_stmt 0               ; matmul.py:31:51
	s_cmp_ge_i32 s23, s17
	.loc	1 31 20                         ; matmul.py:31:20
	s_cbranch_scc1 .LBB0_72
.LBB0_88:                               ;   in Loop: Header=BB0_3 Depth=1
	.loc	1 0 20                          ; matmul.py:0:20
	scratch_load_b64 v[170:171], off, off offset:88 ; 8-byte Folded Reload
	.loc	1 30 59 is_stmt 1               ; matmul.py:30:59
	s_wait_loadcnt 0x0
	v_add_co_u32 v170, vcc_lo, s6, v170
	s_wait_alu depctr_va_vcc(0)
	v_add_co_ci_u32_e64 v171, null, s7, v171, vcc_lo
	.loc	1 31 20                         ; matmul.py:31:20
	global_load_u16 v170, v[170:171], off
	.loc	1 31 51 is_stmt 0               ; matmul.py:31:51
	s_cmp_ge_i32 s24, s17
	.loc	1 31 20                         ; matmul.py:31:20
	s_cbranch_scc1 .LBB0_73
.LBB0_89:                               ;   in Loop: Header=BB0_3 Depth=1
	.loc	1 0 20                          ; matmul.py:0:20
	scratch_load_b64 v[171:172], off, off offset:80 ; 8-byte Folded Reload
	.loc	1 30 59 is_stmt 1               ; matmul.py:30:59
	s_wait_loadcnt 0x0
	v_add_co_u32 v171, vcc_lo, s6, v171
	s_wait_alu depctr_va_vcc(0)
	v_add_co_ci_u32_e64 v172, null, s7, v172, vcc_lo
	.loc	1 31 20                         ; matmul.py:31:20
	global_load_u16 v169, v[171:172], off
	v_dual_mov_b32 v171, 0 :: v_dual_mov_b32 v172, 0
	.loc	1 31 51 is_stmt 0               ; matmul.py:31:51
	s_cmp_ge_i32 s25, s17
	.loc	1 31 20                         ; matmul.py:31:20
	s_cbranch_scc1 .LBB0_74
.LBB0_90:                               ;   in Loop: Header=BB0_3 Depth=1
	.loc	1 0 20                          ; matmul.py:0:20
	scratch_load_b64 v[172:173], off, off offset:72 ; 8-byte Folded Reload
	.loc	1 30 59 is_stmt 1               ; matmul.py:30:59
	s_wait_loadcnt 0x0
	v_add_co_u32 v172, vcc_lo, s6, v172
	s_wait_alu depctr_va_vcc(0)
	v_add_co_ci_u32_e64 v173, null, s7, v173, vcc_lo
	.loc	1 31 20                         ; matmul.py:31:20
	global_load_u16 v172, v[172:173], off
	.loc	1 31 51 is_stmt 0               ; matmul.py:31:51
	s_cmp_ge_i32 s26, s17
	.loc	1 31 20                         ; matmul.py:31:20
	s_cbranch_scc1 .LBB0_75
.LBB0_91:                               ;   in Loop: Header=BB0_3 Depth=1
	.loc	1 0 20                          ; matmul.py:0:20
	scratch_load_b64 v[173:174], off, off offset:64 ; 8-byte Folded Reload
	.loc	1 30 59 is_stmt 1               ; matmul.py:30:59
	s_wait_loadcnt 0x0
	v_add_co_u32 v173, vcc_lo, s6, v173
	s_wait_alu depctr_va_vcc(0)
	v_add_co_ci_u32_e64 v174, null, s7, v174, vcc_lo
	.loc	1 31 20                         ; matmul.py:31:20
	global_load_u16 v171, v[173:174], off
	v_dual_mov_b32 v173, 0 :: v_dual_mov_b32 v174, 0
	.loc	1 31 51 is_stmt 0               ; matmul.py:31:51
	s_cmp_ge_i32 s27, s17
	.loc	1 31 20                         ; matmul.py:31:20
	s_cbranch_scc1 .LBB0_76
.LBB0_92:                               ;   in Loop: Header=BB0_3 Depth=1
	.loc	1 0 20                          ; matmul.py:0:20
	scratch_load_b64 v[174:175], off, off offset:56 ; 8-byte Folded Reload
	.loc	1 30 59 is_stmt 1               ; matmul.py:30:59
	s_wait_loadcnt 0x0
	v_add_co_u32 v174, vcc_lo, s6, v174
	s_wait_alu depctr_va_vcc(0)
	v_add_co_ci_u32_e64 v175, null, s7, v175, vcc_lo
	.loc	1 31 20                         ; matmul.py:31:20
	global_load_u16 v174, v[174:175], off
	.loc	1 31 51 is_stmt 0               ; matmul.py:31:51
	s_cmp_ge_i32 s28, s17
	.loc	1 31 20                         ; matmul.py:31:20
	s_cbranch_scc1 .LBB0_77
.LBB0_93:                               ;   in Loop: Header=BB0_3 Depth=1
	.loc	1 0 20                          ; matmul.py:0:20
	scratch_load_b64 v[175:176], off, off offset:48 ; 8-byte Folded Reload
	.loc	1 30 59 is_stmt 1               ; matmul.py:30:59
	s_wait_loadcnt 0x0
	v_add_co_u32 v175, vcc_lo, s6, v175
	s_wait_alu depctr_va_vcc(0)
	v_add_co_ci_u32_e64 v176, null, s7, v176, vcc_lo
	.loc	1 31 20                         ; matmul.py:31:20
	global_load_u16 v173, v[175:176], off
	v_dual_mov_b32 v175, 0 :: v_dual_mov_b32 v176, 0
	.loc	1 31 51 is_stmt 0               ; matmul.py:31:51
	s_cmp_ge_i32 s29, s17
	.loc	1 31 20                         ; matmul.py:31:20
	s_cbranch_scc1 .LBB0_78
.LBB0_94:                               ;   in Loop: Header=BB0_3 Depth=1
	.loc	1 0 20                          ; matmul.py:0:20
	scratch_load_b64 v[176:177], off, off offset:40 ; 8-byte Folded Reload
	.loc	1 30 59 is_stmt 1               ; matmul.py:30:59
	s_wait_loadcnt 0x0
	v_add_co_u32 v176, vcc_lo, s6, v176
	s_wait_alu depctr_va_vcc(0)
	v_add_co_ci_u32_e64 v177, null, s7, v177, vcc_lo
	.loc	1 31 20                         ; matmul.py:31:20
	global_load_u16 v176, v[176:177], off
	.loc	1 31 51 is_stmt 0               ; matmul.py:31:51
	s_cmp_ge_i32 s30, s17
	.loc	1 31 20                         ; matmul.py:31:20
	s_cbranch_scc1 .LBB0_79
.LBB0_95:                               ;   in Loop: Header=BB0_3 Depth=1
	.loc	1 0 20                          ; matmul.py:0:20
	scratch_load_b64 v[177:178], off, off offset:32 ; 8-byte Folded Reload
	.loc	1 30 59 is_stmt 1               ; matmul.py:30:59
	s_wait_loadcnt 0x0
	v_add_co_u32 v177, vcc_lo, s6, v177
	s_wait_alu depctr_va_vcc(0)
	v_add_co_ci_u32_e64 v178, null, s7, v178, vcc_lo
	.loc	1 31 20                         ; matmul.py:31:20
	global_load_u16 v175, v[177:178], off
	v_dual_mov_b32 v177, 0 :: v_dual_mov_b32 v178, 0
	.loc	1 31 51 is_stmt 0               ; matmul.py:31:51
	s_cmp_ge_i32 s31, s17
	.loc	1 31 20                         ; matmul.py:31:20
	s_cbranch_scc1 .LBB0_80
.LBB0_96:                               ;   in Loop: Header=BB0_3 Depth=1
	.loc	1 0 20                          ; matmul.py:0:20
	scratch_load_b64 v[178:179], off, off offset:24 ; 8-byte Folded Reload
	.loc	1 30 59 is_stmt 1               ; matmul.py:30:59
	s_wait_loadcnt 0x0
	v_add_co_u32 v178, vcc_lo, s6, v178
	s_wait_alu depctr_va_vcc(0)
	v_add_co_ci_u32_e64 v179, null, s7, v179, vcc_lo
	.loc	1 31 20                         ; matmul.py:31:20
	global_load_u16 v178, v[178:179], off
	.loc	1 31 51 is_stmt 0               ; matmul.py:31:51
	s_cmp_ge_i32 s33, s17
	.loc	1 31 20                         ; matmul.py:31:20
	s_cbranch_scc1 .LBB0_81
.LBB0_97:                               ;   in Loop: Header=BB0_3 Depth=1
	.loc	1 0 20                          ; matmul.py:0:20
	scratch_load_b64 v[179:180], off, off offset:16 ; 8-byte Folded Reload
	.loc	1 30 59 is_stmt 1               ; matmul.py:30:59
	s_wait_loadcnt 0x0
	v_add_co_u32 v179, vcc_lo, s6, v179
	s_wait_alu depctr_va_vcc(0)
	v_add_co_ci_u32_e64 v180, null, s7, v180, vcc_lo
	.loc	1 31 20                         ; matmul.py:31:20
	global_load_u16 v177, v[179:180], off
	v_mov_b32_e32 v179, 0
	.loc	1 31 51 is_stmt 0               ; matmul.py:31:51
	s_cmp_ge_i32 s34, s17
	.loc	1 31 20                         ; matmul.py:31:20
	s_cbranch_scc1 .LBB0_2
.LBB0_98:                               ;   in Loop: Header=BB0_3 Depth=1
	.loc	1 0 20                          ; matmul.py:0:20
	scratch_load_b64 v[179:180], off, off offset:8 ; 8-byte Folded Reload
	.loc	1 30 59 is_stmt 1               ; matmul.py:30:59
	s_wait_loadcnt 0x0
	v_add_co_u32 v179, vcc_lo, s6, v179
	s_wait_alu depctr_va_vcc(0)
	v_add_co_ci_u32_e64 v180, null, s7, v180, vcc_lo
	.loc	1 31 20                         ; matmul.py:31:20
	global_load_u16 v179, v[179:180], off
	s_branch .LBB0_2
.LBB0_99:                               ; %._crit_edge.loopexit
	.loc	1 35 23                         ; matmul.py:35:23
	v_cvt_f16_f32_e64 v220, v3
	v_cvt_f16_f32_e64 v128, v95
	v_cvt_f16_f32_e32 v95, v96
	s_clause 0x1                            ; 8-byte Folded Reload
	scratch_load_b32 v96, off, off offset:136
	scratch_load_b32 v3, off, off offset:140
	v_cvt_f16_f32_e64 v222, v1
	v_cvt_f16_f32_e64 v221, v2
	;; [unrolled: 1-line block ×93, first 2 shown]
	v_cvt_f16_f32_e32 v94, v97
	v_cvt_f16_f32_e32 v93, v98
	;; [unrolled: 1-line block ×32, first 2 shown]
.LBB0_100:                              ; %Flow
	.loc	1 0 23 is_stmt 0                ; matmul.py:0:23
	s_load_b64 s[34:35], s[0:1], 0x34
	.loc	1 23 51 is_stmt 1               ; matmul.py:23:51
	s_wait_loadcnt 0x0
	v_lshrrev_b32_e32 v0, 1, v3
	.loc	1 22 38                         ; matmul.py:22:38
	v_or3_b32 v96, s14, v96, s16
	s_delay_alu instid0(VALU_DEP_2) | instskip(NEXT) | instid1(VALU_DEP_2)
	.loc	1 23 38                         ; matmul.py:23:38
	v_and_or_b32 v62, v0, 24, s15
	.loc	1 40 33                         ; matmul.py:40:33
	v_cmp_gt_i32_e64 s31, s38, v96
	s_delay_alu instid0(VALU_DEP_2) | instskip(SKIP_3) | instid1(VALU_DEP_2)
	.loc	1 40 58 is_stmt 0               ; matmul.py:40:58
	v_cmp_gt_i32_e32 vcc_lo, s39, v62
	.loc	1 39 33 is_stmt 1               ; matmul.py:39:33
	s_wait_kmcnt 0x0
	v_mul_lo_u32 v0, v96, s34
	.loc	1 39 64 is_stmt 0               ; matmul.py:39:64
	v_mul_lo_u32 v3, v62, s35
	.loc	1 39 21                         ; matmul.py:39:21
	v_ashrrev_i32_e32 v1, 31, v0
	s_delay_alu instid0(VALU_DEP_2) | instskip(NEXT) | instid1(VALU_DEP_2)
	.loc	1 39 52                         ; matmul.py:39:52
	v_ashrrev_i32_e32 v4, 31, v3
	.loc	1 39 21                         ; matmul.py:39:21
	v_lshlrev_b64_e32 v[5:6], 1, v[0:1]
	s_delay_alu instid0(VALU_DEP_2) | instskip(NEXT) | instid1(VALU_DEP_2)
	v_lshlrev_b64_e32 v[0:1], 1, v[3:4]
	v_add_co_u32 v97, s0, s36, v5
	s_delay_alu instid0(VALU_DEP_1)
	v_add_co_ci_u32_e64 v98, null, s37, v6, s0
	.loc	1 40 39 is_stmt 1               ; matmul.py:40:39
	s_and_b32 s0, s31, vcc_lo
	.loc	1 41 21                         ; matmul.py:41:21
	s_wait_alu depctr_sa_sdst(0)
	s_and_saveexec_b32 s1, s0
	s_cbranch_execz .LBB0_102
; %bb.101:
	.loc	1 0 21 is_stmt 0                ; matmul.py:0:21
	v_add_co_u32 v3, s0, v97, v0
	s_wait_alu depctr_va_sdst(0)
	v_add_co_ci_u32_e64 v4, null, v98, v1, s0
	.loc	1 41 21                         ; matmul.py:41:21
	global_store_b16 v[3:4], v2, off
.LBB0_102:
	.loc	1 0 21                          ; matmul.py:0:21
	s_wait_alu depctr_sa_sdst(0)
	s_or_b32 exec_lo, exec_lo, s1
	.loc	1 23 38 is_stmt 1               ; matmul.py:23:38
	v_or_b32_e32 v4, 1, v62
	s_delay_alu instid0(VALU_DEP_1) | instskip(SKIP_3) | instid1(VALU_DEP_1)
	.loc	1 39 64                         ; matmul.py:39:64
	v_mul_lo_u32 v2, s35, v4
	.loc	1 40 58                         ; matmul.py:40:58
	v_cmp_gt_i32_e64 s0, s39, v4
	.loc	1 40 39 is_stmt 0               ; matmul.py:40:39
	s_and_b32 s1, s0, s31
	.loc	1 39 52 is_stmt 1               ; matmul.py:39:52
	v_ashrrev_i32_e32 v3, 31, v2
	v_lshlrev_b64_e32 v[2:3], 1, v[2:3]
	.loc	1 41 21                         ; matmul.py:41:21
	s_wait_alu depctr_sa_sdst(0)
	s_and_saveexec_b32 s2, s1
	s_cbranch_execz .LBB0_104
; %bb.103:
	.loc	1 0 21 is_stmt 0                ; matmul.py:0:21
	s_delay_alu instid0(VALU_DEP_1)
	.loc	1 39 52 is_stmt 1               ; matmul.py:39:52
	v_add_co_u32 v4, s1, v97, v2
	s_wait_alu depctr_va_sdst(0)
	v_add_co_ci_u32_e64 v5, null, v98, v3, s1
	.loc	1 41 21                         ; matmul.py:41:21
	global_store_b16 v[4:5], v222, off
.LBB0_104:
	.loc	1 0 21 is_stmt 0                ; matmul.py:0:21
	s_wait_alu depctr_sa_sdst(0)
	s_or_b32 exec_lo, exec_lo, s2
	.loc	1 23 38 is_stmt 1               ; matmul.py:23:38
	v_or_b32_e32 v6, 2, v62
	s_delay_alu instid0(VALU_DEP_1) | instskip(SKIP_3) | instid1(VALU_DEP_1)
	.loc	1 39 64                         ; matmul.py:39:64
	v_mul_lo_u32 v4, s35, v6
	.loc	1 40 58                         ; matmul.py:40:58
	v_cmp_gt_i32_e64 s1, s39, v6
	.loc	1 40 39 is_stmt 0               ; matmul.py:40:39
	s_and_b32 s2, s1, s31
	.loc	1 39 52 is_stmt 1               ; matmul.py:39:52
	v_ashrrev_i32_e32 v5, 31, v4
	v_lshlrev_b64_e32 v[4:5], 1, v[4:5]
	.loc	1 41 21                         ; matmul.py:41:21
	s_wait_alu depctr_sa_sdst(0)
	s_and_saveexec_b32 s3, s2
	s_cbranch_execz .LBB0_106
; %bb.105:
	.loc	1 0 21 is_stmt 0                ; matmul.py:0:21
	s_delay_alu instid0(VALU_DEP_1)
	.loc	1 39 52 is_stmt 1               ; matmul.py:39:52
	v_add_co_u32 v6, s2, v97, v4
	s_wait_alu depctr_va_sdst(0)
	v_add_co_ci_u32_e64 v7, null, v98, v5, s2
	.loc	1 41 21                         ; matmul.py:41:21
	global_store_b16 v[6:7], v221, off
.LBB0_106:
	.loc	1 0 21 is_stmt 0                ; matmul.py:0:21
	s_wait_alu depctr_sa_sdst(0)
	s_or_b32 exec_lo, exec_lo, s3
	.loc	1 23 38 is_stmt 1               ; matmul.py:23:38
	v_or_b32_e32 v8, 3, v62
	s_delay_alu instid0(VALU_DEP_1) | instskip(SKIP_3) | instid1(VALU_DEP_1)
	.loc	1 39 64                         ; matmul.py:39:64
	v_mul_lo_u32 v6, s35, v8
	.loc	1 40 58                         ; matmul.py:40:58
	v_cmp_gt_i32_e64 s2, s39, v8
	.loc	1 40 39 is_stmt 0               ; matmul.py:40:39
	s_and_b32 s3, s2, s31
	.loc	1 39 52 is_stmt 1               ; matmul.py:39:52
	v_ashrrev_i32_e32 v7, 31, v6
	v_lshlrev_b64_e32 v[6:7], 1, v[6:7]
	.loc	1 41 21                         ; matmul.py:41:21
	s_wait_alu depctr_sa_sdst(0)
	s_and_saveexec_b32 s4, s3
	s_cbranch_execz .LBB0_108
; %bb.107:
	.loc	1 0 21 is_stmt 0                ; matmul.py:0:21
	s_delay_alu instid0(VALU_DEP_1)
	.loc	1 39 52 is_stmt 1               ; matmul.py:39:52
	v_add_co_u32 v8, s3, v97, v6
	s_wait_alu depctr_va_sdst(0)
	v_add_co_ci_u32_e64 v9, null, v98, v7, s3
	.loc	1 41 21                         ; matmul.py:41:21
	global_store_b16 v[8:9], v220, off
.LBB0_108:
	.loc	1 0 21 is_stmt 0                ; matmul.py:0:21
	s_wait_alu depctr_sa_sdst(0)
	s_or_b32 exec_lo, exec_lo, s4
	.loc	1 23 38 is_stmt 1               ; matmul.py:23:38
	v_or_b32_e32 v10, 4, v62
	s_delay_alu instid0(VALU_DEP_1) | instskip(SKIP_3) | instid1(VALU_DEP_1)
	.loc	1 39 64                         ; matmul.py:39:64
	v_mul_lo_u32 v8, s35, v10
	.loc	1 40 58                         ; matmul.py:40:58
	v_cmp_gt_i32_e64 s3, s39, v10
	.loc	1 40 39 is_stmt 0               ; matmul.py:40:39
	s_and_b32 s4, s3, s31
	.loc	1 39 52 is_stmt 1               ; matmul.py:39:52
	v_ashrrev_i32_e32 v9, 31, v8
	v_lshlrev_b64_e32 v[8:9], 1, v[8:9]
	.loc	1 41 21                         ; matmul.py:41:21
	s_wait_alu depctr_sa_sdst(0)
	s_and_saveexec_b32 s5, s4
	s_cbranch_execz .LBB0_110
; %bb.109:
	.loc	1 0 21 is_stmt 0                ; matmul.py:0:21
	s_delay_alu instid0(VALU_DEP_1)
	.loc	1 39 52 is_stmt 1               ; matmul.py:39:52
	v_add_co_u32 v10, s4, v97, v8
	s_wait_alu depctr_va_sdst(0)
	v_add_co_ci_u32_e64 v11, null, v98, v9, s4
	.loc	1 41 21                         ; matmul.py:41:21
	global_store_b16 v[10:11], v219, off
.LBB0_110:
	.loc	1 0 21 is_stmt 0                ; matmul.py:0:21
	s_wait_alu depctr_sa_sdst(0)
	s_or_b32 exec_lo, exec_lo, s5
	.loc	1 23 38 is_stmt 1               ; matmul.py:23:38
	v_or_b32_e32 v12, 5, v62
	s_delay_alu instid0(VALU_DEP_1) | instskip(SKIP_3) | instid1(VALU_DEP_1)
	.loc	1 39 64                         ; matmul.py:39:64
	v_mul_lo_u32 v10, s35, v12
	.loc	1 40 58                         ; matmul.py:40:58
	v_cmp_gt_i32_e64 s4, s39, v12
	.loc	1 40 39 is_stmt 0               ; matmul.py:40:39
	s_and_b32 s5, s4, s31
	.loc	1 39 52 is_stmt 1               ; matmul.py:39:52
	v_ashrrev_i32_e32 v11, 31, v10
	v_lshlrev_b64_e32 v[10:11], 1, v[10:11]
	.loc	1 41 21                         ; matmul.py:41:21
	s_wait_alu depctr_sa_sdst(0)
	s_and_saveexec_b32 s6, s5
	s_cbranch_execz .LBB0_112
; %bb.111:
	.loc	1 0 21 is_stmt 0                ; matmul.py:0:21
	s_delay_alu instid0(VALU_DEP_1)
	.loc	1 39 52 is_stmt 1               ; matmul.py:39:52
	v_add_co_u32 v12, s5, v97, v10
	s_wait_alu depctr_va_sdst(0)
	v_add_co_ci_u32_e64 v13, null, v98, v11, s5
	.loc	1 41 21                         ; matmul.py:41:21
	global_store_b16 v[12:13], v218, off
.LBB0_112:
	.loc	1 0 21 is_stmt 0                ; matmul.py:0:21
	s_wait_alu depctr_sa_sdst(0)
	s_or_b32 exec_lo, exec_lo, s6
	.loc	1 23 38 is_stmt 1               ; matmul.py:23:38
	v_or_b32_e32 v14, 6, v62
	s_delay_alu instid0(VALU_DEP_1) | instskip(SKIP_3) | instid1(VALU_DEP_1)
	.loc	1 39 64                         ; matmul.py:39:64
	v_mul_lo_u32 v12, s35, v14
	.loc	1 40 58                         ; matmul.py:40:58
	v_cmp_gt_i32_e64 s5, s39, v14
	.loc	1 40 39 is_stmt 0               ; matmul.py:40:39
	s_and_b32 s6, s5, s31
	.loc	1 39 52 is_stmt 1               ; matmul.py:39:52
	v_ashrrev_i32_e32 v13, 31, v12
	v_lshlrev_b64_e32 v[12:13], 1, v[12:13]
	.loc	1 41 21                         ; matmul.py:41:21
	s_wait_alu depctr_sa_sdst(0)
	s_and_saveexec_b32 s7, s6
	s_cbranch_execz .LBB0_114
; %bb.113:
	.loc	1 0 21 is_stmt 0                ; matmul.py:0:21
	s_delay_alu instid0(VALU_DEP_1)
	.loc	1 39 52 is_stmt 1               ; matmul.py:39:52
	v_add_co_u32 v14, s6, v97, v12
	s_wait_alu depctr_va_sdst(0)
	v_add_co_ci_u32_e64 v15, null, v98, v13, s6
	.loc	1 41 21                         ; matmul.py:41:21
	global_store_b16 v[14:15], v217, off
.LBB0_114:
	.loc	1 0 21 is_stmt 0                ; matmul.py:0:21
	s_wait_alu depctr_sa_sdst(0)
	s_or_b32 exec_lo, exec_lo, s7
	.loc	1 23 38 is_stmt 1               ; matmul.py:23:38
	v_or_b32_e32 v16, 7, v62
	s_delay_alu instid0(VALU_DEP_1) | instskip(SKIP_3) | instid1(VALU_DEP_1)
	.loc	1 39 64                         ; matmul.py:39:64
	v_mul_lo_u32 v14, s35, v16
	.loc	1 40 58                         ; matmul.py:40:58
	v_cmp_gt_i32_e64 s6, s39, v16
	.loc	1 40 39 is_stmt 0               ; matmul.py:40:39
	s_and_b32 s7, s6, s31
	.loc	1 39 52 is_stmt 1               ; matmul.py:39:52
	v_ashrrev_i32_e32 v15, 31, v14
	v_lshlrev_b64_e32 v[14:15], 1, v[14:15]
	.loc	1 41 21                         ; matmul.py:41:21
	s_wait_alu depctr_sa_sdst(0)
	s_and_saveexec_b32 s8, s7
	s_cbranch_execz .LBB0_116
; %bb.115:
	.loc	1 0 21 is_stmt 0                ; matmul.py:0:21
	s_delay_alu instid0(VALU_DEP_1)
	.loc	1 39 52 is_stmt 1               ; matmul.py:39:52
	v_add_co_u32 v16, s7, v97, v14
	s_wait_alu depctr_va_sdst(0)
	v_add_co_ci_u32_e64 v17, null, v98, v15, s7
	.loc	1 41 21                         ; matmul.py:41:21
	global_store_b16 v[16:17], v216, off
.LBB0_116:
	.loc	1 0 21 is_stmt 0                ; matmul.py:0:21
	s_wait_alu depctr_sa_sdst(0)
	s_or_b32 exec_lo, exec_lo, s8
	.loc	1 23 38 is_stmt 1               ; matmul.py:23:38
	v_or_b32_e32 v18, 32, v62
	s_delay_alu instid0(VALU_DEP_1) | instskip(SKIP_3) | instid1(VALU_DEP_1)
	.loc	1 39 64                         ; matmul.py:39:64
	v_mul_lo_u32 v16, s35, v18
	.loc	1 40 58                         ; matmul.py:40:58
	v_cmp_gt_i32_e64 s7, s39, v18
	.loc	1 40 39 is_stmt 0               ; matmul.py:40:39
	s_and_b32 s8, s7, s31
	.loc	1 39 52 is_stmt 1               ; matmul.py:39:52
	v_ashrrev_i32_e32 v17, 31, v16
	v_lshlrev_b64_e32 v[16:17], 1, v[16:17]
	.loc	1 41 21                         ; matmul.py:41:21
	s_wait_alu depctr_sa_sdst(0)
	s_and_saveexec_b32 s9, s8
	s_cbranch_execz .LBB0_118
; %bb.117:
	.loc	1 0 21 is_stmt 0                ; matmul.py:0:21
	s_delay_alu instid0(VALU_DEP_1)
	.loc	1 39 52 is_stmt 1               ; matmul.py:39:52
	v_add_co_u32 v18, s8, v97, v16
	s_wait_alu depctr_va_sdst(0)
	v_add_co_ci_u32_e64 v19, null, v98, v17, s8
	.loc	1 41 21                         ; matmul.py:41:21
	global_store_b16 v[18:19], v215, off
.LBB0_118:
	.loc	1 0 21 is_stmt 0                ; matmul.py:0:21
	s_wait_alu depctr_sa_sdst(0)
	s_or_b32 exec_lo, exec_lo, s9
	.loc	1 23 38 is_stmt 1               ; matmul.py:23:38
	v_or_b32_e32 v20, 33, v62
	s_delay_alu instid0(VALU_DEP_1) | instskip(SKIP_3) | instid1(VALU_DEP_1)
	.loc	1 39 64                         ; matmul.py:39:64
	v_mul_lo_u32 v18, s35, v20
	.loc	1 40 58                         ; matmul.py:40:58
	v_cmp_gt_i32_e64 s8, s39, v20
	.loc	1 40 39 is_stmt 0               ; matmul.py:40:39
	s_and_b32 s9, s8, s31
	.loc	1 39 52 is_stmt 1               ; matmul.py:39:52
	v_ashrrev_i32_e32 v19, 31, v18
	v_lshlrev_b64_e32 v[18:19], 1, v[18:19]
	.loc	1 41 21                         ; matmul.py:41:21
	s_wait_alu depctr_sa_sdst(0)
	s_and_saveexec_b32 s10, s9
	s_cbranch_execz .LBB0_120
; %bb.119:
	.loc	1 0 21 is_stmt 0                ; matmul.py:0:21
	s_delay_alu instid0(VALU_DEP_1)
	.loc	1 39 52 is_stmt 1               ; matmul.py:39:52
	v_add_co_u32 v20, s9, v97, v18
	s_wait_alu depctr_va_sdst(0)
	v_add_co_ci_u32_e64 v21, null, v98, v19, s9
	.loc	1 41 21                         ; matmul.py:41:21
	global_store_b16 v[20:21], v214, off
.LBB0_120:
	.loc	1 0 21 is_stmt 0                ; matmul.py:0:21
	s_wait_alu depctr_sa_sdst(0)
	s_or_b32 exec_lo, exec_lo, s10
	.loc	1 23 38 is_stmt 1               ; matmul.py:23:38
	v_or_b32_e32 v22, 34, v62
	s_delay_alu instid0(VALU_DEP_1) | instskip(SKIP_3) | instid1(VALU_DEP_1)
	.loc	1 39 64                         ; matmul.py:39:64
	v_mul_lo_u32 v20, s35, v22
	.loc	1 40 58                         ; matmul.py:40:58
	v_cmp_gt_i32_e64 s9, s39, v22
	.loc	1 40 39 is_stmt 0               ; matmul.py:40:39
	s_and_b32 s10, s9, s31
	.loc	1 39 52 is_stmt 1               ; matmul.py:39:52
	v_ashrrev_i32_e32 v21, 31, v20
	v_lshlrev_b64_e32 v[20:21], 1, v[20:21]
	.loc	1 41 21                         ; matmul.py:41:21
	s_wait_alu depctr_sa_sdst(0)
	s_and_saveexec_b32 s11, s10
	s_cbranch_execz .LBB0_122
; %bb.121:
	.loc	1 0 21 is_stmt 0                ; matmul.py:0:21
	s_delay_alu instid0(VALU_DEP_1)
	.loc	1 39 52 is_stmt 1               ; matmul.py:39:52
	v_add_co_u32 v22, s10, v97, v20
	s_wait_alu depctr_va_sdst(0)
	v_add_co_ci_u32_e64 v23, null, v98, v21, s10
	.loc	1 41 21                         ; matmul.py:41:21
	global_store_b16 v[22:23], v213, off
.LBB0_122:
	.loc	1 0 21 is_stmt 0                ; matmul.py:0:21
	s_wait_alu depctr_sa_sdst(0)
	s_or_b32 exec_lo, exec_lo, s11
	.loc	1 23 38 is_stmt 1               ; matmul.py:23:38
	v_or_b32_e32 v24, 35, v62
	s_delay_alu instid0(VALU_DEP_1) | instskip(SKIP_3) | instid1(VALU_DEP_1)
	.loc	1 39 64                         ; matmul.py:39:64
	v_mul_lo_u32 v22, s35, v24
	.loc	1 40 58                         ; matmul.py:40:58
	v_cmp_gt_i32_e64 s10, s39, v24
	.loc	1 40 39 is_stmt 0               ; matmul.py:40:39
	s_and_b32 s11, s10, s31
	.loc	1 39 52 is_stmt 1               ; matmul.py:39:52
	v_ashrrev_i32_e32 v23, 31, v22
	v_lshlrev_b64_e32 v[22:23], 1, v[22:23]
	.loc	1 41 21                         ; matmul.py:41:21
	s_wait_alu depctr_sa_sdst(0)
	s_and_saveexec_b32 s12, s11
	s_cbranch_execz .LBB0_124
; %bb.123:
	.loc	1 0 21 is_stmt 0                ; matmul.py:0:21
	s_delay_alu instid0(VALU_DEP_1)
	.loc	1 39 52 is_stmt 1               ; matmul.py:39:52
	v_add_co_u32 v24, s11, v97, v22
	s_wait_alu depctr_va_sdst(0)
	v_add_co_ci_u32_e64 v25, null, v98, v23, s11
	.loc	1 41 21                         ; matmul.py:41:21
	global_store_b16 v[24:25], v212, off
.LBB0_124:
	.loc	1 0 21 is_stmt 0                ; matmul.py:0:21
	s_or_b32 exec_lo, exec_lo, s12
	.loc	1 23 38 is_stmt 1               ; matmul.py:23:38
	v_or_b32_e32 v26, 36, v62
	s_delay_alu instid0(VALU_DEP_1) | instskip(SKIP_3) | instid1(VALU_DEP_1)
	.loc	1 39 64                         ; matmul.py:39:64
	v_mul_lo_u32 v24, s35, v26
	.loc	1 40 58                         ; matmul.py:40:58
	v_cmp_gt_i32_e64 s11, s39, v26
	.loc	1 40 39 is_stmt 0               ; matmul.py:40:39
	s_and_b32 s12, s11, s31
	.loc	1 39 52 is_stmt 1               ; matmul.py:39:52
	v_ashrrev_i32_e32 v25, 31, v24
	v_lshlrev_b64_e32 v[24:25], 1, v[24:25]
	.loc	1 41 21                         ; matmul.py:41:21
	s_and_saveexec_b32 s13, s12
	s_cbranch_execz .LBB0_126
; %bb.125:
	.loc	1 0 21 is_stmt 0                ; matmul.py:0:21
	s_delay_alu instid0(VALU_DEP_1) | instskip(NEXT) | instid1(VALU_DEP_1)
	.loc	1 39 52 is_stmt 1               ; matmul.py:39:52
	v_add_co_u32 v26, s12, v97, v24
	v_add_co_ci_u32_e64 v27, null, v98, v25, s12
	.loc	1 41 21                         ; matmul.py:41:21
	global_store_b16 v[26:27], v211, off
.LBB0_126:
	.loc	1 0 21 is_stmt 0                ; matmul.py:0:21
	s_or_b32 exec_lo, exec_lo, s13
	.loc	1 23 38 is_stmt 1               ; matmul.py:23:38
	v_or_b32_e32 v28, 37, v62
	s_delay_alu instid0(VALU_DEP_1) | instskip(SKIP_3) | instid1(VALU_DEP_1)
	.loc	1 39 64                         ; matmul.py:39:64
	v_mul_lo_u32 v26, s35, v28
	.loc	1 40 58                         ; matmul.py:40:58
	v_cmp_gt_i32_e64 s12, s39, v28
	.loc	1 40 39 is_stmt 0               ; matmul.py:40:39
	s_and_b32 s13, s12, s31
	.loc	1 39 52 is_stmt 1               ; matmul.py:39:52
	v_ashrrev_i32_e32 v27, 31, v26
	v_lshlrev_b64_e32 v[26:27], 1, v[26:27]
	.loc	1 41 21                         ; matmul.py:41:21
	s_wait_alu depctr_sa_sdst(0)
	s_and_saveexec_b32 s14, s13
	s_cbranch_execz .LBB0_128
; %bb.127:
	.loc	1 0 21 is_stmt 0                ; matmul.py:0:21
	s_delay_alu instid0(VALU_DEP_1)
	.loc	1 39 52 is_stmt 1               ; matmul.py:39:52
	v_add_co_u32 v28, s13, v97, v26
	s_wait_alu depctr_va_sdst(0)
	v_add_co_ci_u32_e64 v29, null, v98, v27, s13
	.loc	1 41 21                         ; matmul.py:41:21
	global_store_b16 v[28:29], v210, off
.LBB0_128:
	.loc	1 0 21 is_stmt 0                ; matmul.py:0:21
	s_wait_alu depctr_sa_sdst(0)
	s_or_b32 exec_lo, exec_lo, s14
	.loc	1 23 38 is_stmt 1               ; matmul.py:23:38
	v_or_b32_e32 v30, 38, v62
	s_delay_alu instid0(VALU_DEP_1) | instskip(SKIP_3) | instid1(VALU_DEP_1)
	.loc	1 39 64                         ; matmul.py:39:64
	v_mul_lo_u32 v28, s35, v30
	.loc	1 40 58                         ; matmul.py:40:58
	v_cmp_gt_i32_e64 s13, s39, v30
	.loc	1 40 39 is_stmt 0               ; matmul.py:40:39
	s_and_b32 s14, s13, s31
	.loc	1 39 52 is_stmt 1               ; matmul.py:39:52
	v_ashrrev_i32_e32 v29, 31, v28
	v_lshlrev_b64_e32 v[28:29], 1, v[28:29]
	.loc	1 41 21                         ; matmul.py:41:21
	s_wait_alu depctr_sa_sdst(0)
	s_and_saveexec_b32 s15, s14
	s_cbranch_execz .LBB0_130
; %bb.129:
	.loc	1 0 21 is_stmt 0                ; matmul.py:0:21
	s_delay_alu instid0(VALU_DEP_1)
	.loc	1 39 52 is_stmt 1               ; matmul.py:39:52
	v_add_co_u32 v30, s14, v97, v28
	s_wait_alu depctr_va_sdst(0)
	v_add_co_ci_u32_e64 v31, null, v98, v29, s14
	.loc	1 41 21                         ; matmul.py:41:21
	global_store_b16 v[30:31], v209, off
.LBB0_130:
	.loc	1 0 21 is_stmt 0                ; matmul.py:0:21
	s_wait_alu depctr_sa_sdst(0)
	;; [unrolled: 29-line block ×19, first 2 shown]
	s_or_b32 exec_lo, exec_lo, s33
	.loc	1 22 38 is_stmt 1               ; matmul.py:22:38
	v_or_b32_e32 v99, 64, v96
	s_delay_alu instid0(VALU_DEP_1) | instskip(SKIP_1) | instid1(VALU_DEP_2)
	.loc	1 39 33                         ; matmul.py:39:33
	v_mul_lo_u32 v97, s34, v99
	.loc	1 40 33                         ; matmul.py:40:33
	v_cmp_gt_i32_e64 s31, s38, v99
	.loc	1 39 21                         ; matmul.py:39:21
	v_ashrrev_i32_e32 v98, 31, v97
	s_delay_alu instid0(VALU_DEP_1) | instskip(NEXT) | instid1(VALU_DEP_1)
	v_lshlrev_b64_e32 v[97:98], 1, v[97:98]
	v_add_co_u32 v97, s33, s36, v97
	s_wait_alu depctr_va_sdst(0)
	s_delay_alu instid0(VALU_DEP_2)
	v_add_co_ci_u32_e64 v98, null, s37, v98, s33
	.loc	1 40 39                         ; matmul.py:40:39
	s_and_b32 s33, s31, vcc_lo
	.loc	1 41 21                         ; matmul.py:41:21
	s_wait_alu depctr_sa_sdst(0)
	s_and_saveexec_b32 s35, s33
	s_cbranch_execnz .LBB0_263
; %bb.165:
	.loc	1 0 21 is_stmt 0                ; matmul.py:0:21
	s_wait_alu depctr_sa_sdst(0)
	s_or_b32 exec_lo, exec_lo, s35
	.loc	1 40 39 is_stmt 1               ; matmul.py:40:39
	s_and_b32 s33, s31, s0
	.loc	1 41 21                         ; matmul.py:41:21
	s_wait_alu depctr_sa_sdst(0)
	s_and_saveexec_b32 s35, s33
	s_cbranch_execnz .LBB0_264
.LBB0_166:
	.loc	1 0 21 is_stmt 0                ; matmul.py:0:21
	s_wait_alu depctr_sa_sdst(0)
	s_or_b32 exec_lo, exec_lo, s35
	.loc	1 40 39 is_stmt 1               ; matmul.py:40:39
	s_and_b32 s33, s31, s1
	.loc	1 41 21                         ; matmul.py:41:21
	s_wait_alu depctr_sa_sdst(0)
	s_and_saveexec_b32 s35, s33
	s_cbranch_execnz .LBB0_265
.LBB0_167:
	.loc	1 0 21 is_stmt 0                ; matmul.py:0:21
	s_wait_alu depctr_sa_sdst(0)
	s_or_b32 exec_lo, exec_lo, s35
	.loc	1 40 39 is_stmt 1               ; matmul.py:40:39
	s_and_b32 s33, s31, s2
	.loc	1 41 21                         ; matmul.py:41:21
	s_wait_alu depctr_sa_sdst(0)
	s_and_saveexec_b32 s35, s33
	s_cbranch_execnz .LBB0_266
.LBB0_168:
	.loc	1 0 21 is_stmt 0                ; matmul.py:0:21
	s_wait_alu depctr_sa_sdst(0)
	s_or_b32 exec_lo, exec_lo, s35
	.loc	1 40 39 is_stmt 1               ; matmul.py:40:39
	s_and_b32 s33, s31, s3
	.loc	1 41 21                         ; matmul.py:41:21
	s_wait_alu depctr_sa_sdst(0)
	s_and_saveexec_b32 s35, s33
	s_cbranch_execnz .LBB0_267
.LBB0_169:
	.loc	1 0 21 is_stmt 0                ; matmul.py:0:21
	s_wait_alu depctr_sa_sdst(0)
	s_or_b32 exec_lo, exec_lo, s35
	.loc	1 40 39 is_stmt 1               ; matmul.py:40:39
	s_and_b32 s33, s31, s4
	.loc	1 41 21                         ; matmul.py:41:21
	s_wait_alu depctr_sa_sdst(0)
	s_and_saveexec_b32 s35, s33
	s_cbranch_execnz .LBB0_268
.LBB0_170:
	.loc	1 0 21 is_stmt 0                ; matmul.py:0:21
	s_wait_alu depctr_sa_sdst(0)
	s_or_b32 exec_lo, exec_lo, s35
	.loc	1 40 39 is_stmt 1               ; matmul.py:40:39
	s_and_b32 s33, s31, s5
	.loc	1 41 21                         ; matmul.py:41:21
	s_wait_alu depctr_sa_sdst(0)
	s_and_saveexec_b32 s35, s33
	s_cbranch_execnz .LBB0_269
.LBB0_171:
	.loc	1 0 21 is_stmt 0                ; matmul.py:0:21
	s_wait_alu depctr_sa_sdst(0)
	s_or_b32 exec_lo, exec_lo, s35
	.loc	1 40 39 is_stmt 1               ; matmul.py:40:39
	s_and_b32 s33, s31, s6
	.loc	1 41 21                         ; matmul.py:41:21
	s_wait_alu depctr_sa_sdst(0)
	s_and_saveexec_b32 s35, s33
	s_cbranch_execnz .LBB0_270
.LBB0_172:
	.loc	1 0 21 is_stmt 0                ; matmul.py:0:21
	s_wait_alu depctr_sa_sdst(0)
	s_or_b32 exec_lo, exec_lo, s35
	.loc	1 40 39 is_stmt 1               ; matmul.py:40:39
	s_and_b32 s33, s31, s7
	.loc	1 41 21                         ; matmul.py:41:21
	s_wait_alu depctr_sa_sdst(0)
	s_and_saveexec_b32 s35, s33
	s_cbranch_execnz .LBB0_271
.LBB0_173:
	.loc	1 0 21 is_stmt 0                ; matmul.py:0:21
	s_wait_alu depctr_sa_sdst(0)
	s_or_b32 exec_lo, exec_lo, s35
	.loc	1 40 39 is_stmt 1               ; matmul.py:40:39
	s_and_b32 s33, s31, s8
	.loc	1 41 21                         ; matmul.py:41:21
	s_wait_alu depctr_sa_sdst(0)
	s_and_saveexec_b32 s35, s33
	s_cbranch_execnz .LBB0_272
.LBB0_174:
	.loc	1 0 21 is_stmt 0                ; matmul.py:0:21
	s_wait_alu depctr_sa_sdst(0)
	s_or_b32 exec_lo, exec_lo, s35
	.loc	1 40 39 is_stmt 1               ; matmul.py:40:39
	s_and_b32 s33, s31, s9
	.loc	1 41 21                         ; matmul.py:41:21
	s_wait_alu depctr_sa_sdst(0)
	s_and_saveexec_b32 s35, s33
	s_cbranch_execnz .LBB0_273
.LBB0_175:
	.loc	1 0 21 is_stmt 0                ; matmul.py:0:21
	s_wait_alu depctr_sa_sdst(0)
	s_or_b32 exec_lo, exec_lo, s35
	.loc	1 40 39 is_stmt 1               ; matmul.py:40:39
	s_and_b32 s33, s31, s10
	.loc	1 41 21                         ; matmul.py:41:21
	s_wait_alu depctr_sa_sdst(0)
	s_and_saveexec_b32 s35, s33
	s_cbranch_execnz .LBB0_274
.LBB0_176:
	.loc	1 0 21 is_stmt 0                ; matmul.py:0:21
	s_wait_alu depctr_sa_sdst(0)
	s_or_b32 exec_lo, exec_lo, s35
	.loc	1 40 39 is_stmt 1               ; matmul.py:40:39
	s_and_b32 s33, s31, s11
	.loc	1 41 21                         ; matmul.py:41:21
	s_wait_alu depctr_sa_sdst(0)
	s_and_saveexec_b32 s35, s33
	s_cbranch_execnz .LBB0_275
.LBB0_177:
	.loc	1 0 21 is_stmt 0                ; matmul.py:0:21
	s_wait_alu depctr_sa_sdst(0)
	s_or_b32 exec_lo, exec_lo, s35
	.loc	1 40 39 is_stmt 1               ; matmul.py:40:39
	s_and_b32 s33, s31, s12
	.loc	1 41 21                         ; matmul.py:41:21
	s_wait_alu depctr_sa_sdst(0)
	s_and_saveexec_b32 s35, s33
	s_cbranch_execnz .LBB0_276
.LBB0_178:
	.loc	1 0 21 is_stmt 0                ; matmul.py:0:21
	s_wait_alu depctr_sa_sdst(0)
	s_or_b32 exec_lo, exec_lo, s35
	.loc	1 40 39 is_stmt 1               ; matmul.py:40:39
	s_and_b32 s33, s31, s13
	.loc	1 41 21                         ; matmul.py:41:21
	s_wait_alu depctr_sa_sdst(0)
	s_and_saveexec_b32 s35, s33
	s_cbranch_execnz .LBB0_277
.LBB0_179:
	.loc	1 0 21 is_stmt 0                ; matmul.py:0:21
	s_wait_alu depctr_sa_sdst(0)
	s_or_b32 exec_lo, exec_lo, s35
	.loc	1 40 39 is_stmt 1               ; matmul.py:40:39
	s_and_b32 s33, s31, s14
	.loc	1 41 21                         ; matmul.py:41:21
	s_wait_alu depctr_sa_sdst(0)
	s_and_saveexec_b32 s35, s33
	s_cbranch_execnz .LBB0_278
.LBB0_180:
	.loc	1 0 21 is_stmt 0                ; matmul.py:0:21
	s_wait_alu depctr_sa_sdst(0)
	s_or_b32 exec_lo, exec_lo, s35
	.loc	1 40 39 is_stmt 1               ; matmul.py:40:39
	s_and_b32 s33, s31, s15
	.loc	1 41 21                         ; matmul.py:41:21
	s_wait_alu depctr_sa_sdst(0)
	s_and_saveexec_b32 s35, s33
	s_cbranch_execnz .LBB0_279
.LBB0_181:
	.loc	1 0 21 is_stmt 0                ; matmul.py:0:21
	s_wait_alu depctr_sa_sdst(0)
	s_or_b32 exec_lo, exec_lo, s35
	.loc	1 40 39 is_stmt 1               ; matmul.py:40:39
	s_and_b32 s33, s31, s16
	.loc	1 41 21                         ; matmul.py:41:21
	s_wait_alu depctr_sa_sdst(0)
	s_and_saveexec_b32 s35, s33
	s_cbranch_execnz .LBB0_280
.LBB0_182:
	.loc	1 0 21 is_stmt 0                ; matmul.py:0:21
	s_wait_alu depctr_sa_sdst(0)
	s_or_b32 exec_lo, exec_lo, s35
	.loc	1 40 39 is_stmt 1               ; matmul.py:40:39
	s_and_b32 s33, s31, s17
	.loc	1 41 21                         ; matmul.py:41:21
	s_wait_alu depctr_sa_sdst(0)
	s_and_saveexec_b32 s35, s33
	s_cbranch_execnz .LBB0_281
.LBB0_183:
	.loc	1 0 21 is_stmt 0                ; matmul.py:0:21
	s_wait_alu depctr_sa_sdst(0)
	s_or_b32 exec_lo, exec_lo, s35
	.loc	1 40 39 is_stmt 1               ; matmul.py:40:39
	s_and_b32 s33, s31, s18
	.loc	1 41 21                         ; matmul.py:41:21
	s_wait_alu depctr_sa_sdst(0)
	s_and_saveexec_b32 s35, s33
	s_cbranch_execnz .LBB0_282
.LBB0_184:
	.loc	1 0 21 is_stmt 0                ; matmul.py:0:21
	s_wait_alu depctr_sa_sdst(0)
	s_or_b32 exec_lo, exec_lo, s35
	.loc	1 40 39 is_stmt 1               ; matmul.py:40:39
	s_and_b32 s33, s31, s19
	.loc	1 41 21                         ; matmul.py:41:21
	s_wait_alu depctr_sa_sdst(0)
	s_and_saveexec_b32 s35, s33
	s_cbranch_execnz .LBB0_283
.LBB0_185:
	.loc	1 0 21 is_stmt 0                ; matmul.py:0:21
	s_wait_alu depctr_sa_sdst(0)
	s_or_b32 exec_lo, exec_lo, s35
	.loc	1 40 39 is_stmt 1               ; matmul.py:40:39
	s_and_b32 s33, s31, s20
	.loc	1 41 21                         ; matmul.py:41:21
	s_wait_alu depctr_sa_sdst(0)
	s_and_saveexec_b32 s35, s33
	s_cbranch_execnz .LBB0_284
.LBB0_186:
	.loc	1 0 21 is_stmt 0                ; matmul.py:0:21
	s_wait_alu depctr_sa_sdst(0)
	s_or_b32 exec_lo, exec_lo, s35
	.loc	1 40 39 is_stmt 1               ; matmul.py:40:39
	s_and_b32 s33, s31, s21
	.loc	1 41 21                         ; matmul.py:41:21
	s_wait_alu depctr_sa_sdst(0)
	s_and_saveexec_b32 s35, s33
	s_cbranch_execnz .LBB0_285
.LBB0_187:
	.loc	1 0 21 is_stmt 0                ; matmul.py:0:21
	s_wait_alu depctr_sa_sdst(0)
	s_or_b32 exec_lo, exec_lo, s35
	.loc	1 40 39 is_stmt 1               ; matmul.py:40:39
	s_and_b32 s33, s31, s22
	.loc	1 41 21                         ; matmul.py:41:21
	s_wait_alu depctr_sa_sdst(0)
	s_and_saveexec_b32 s35, s33
	s_cbranch_execnz .LBB0_286
.LBB0_188:
	.loc	1 0 21 is_stmt 0                ; matmul.py:0:21
	s_wait_alu depctr_sa_sdst(0)
	s_or_b32 exec_lo, exec_lo, s35
	.loc	1 40 39 is_stmt 1               ; matmul.py:40:39
	s_and_b32 s33, s31, s23
	.loc	1 41 21                         ; matmul.py:41:21
	s_wait_alu depctr_sa_sdst(0)
	s_and_saveexec_b32 s35, s33
	s_cbranch_execnz .LBB0_287
.LBB0_189:
	.loc	1 0 21 is_stmt 0                ; matmul.py:0:21
	s_wait_alu depctr_sa_sdst(0)
	s_or_b32 exec_lo, exec_lo, s35
	.loc	1 40 39 is_stmt 1               ; matmul.py:40:39
	s_and_b32 s33, s31, s24
	.loc	1 41 21                         ; matmul.py:41:21
	s_wait_alu depctr_sa_sdst(0)
	s_and_saveexec_b32 s35, s33
	s_cbranch_execnz .LBB0_288
.LBB0_190:
	.loc	1 0 21 is_stmt 0                ; matmul.py:0:21
	s_wait_alu depctr_sa_sdst(0)
	s_or_b32 exec_lo, exec_lo, s35
	.loc	1 40 39 is_stmt 1               ; matmul.py:40:39
	s_and_b32 s33, s31, s25
	.loc	1 41 21                         ; matmul.py:41:21
	s_wait_alu depctr_sa_sdst(0)
	s_and_saveexec_b32 s35, s33
	s_cbranch_execnz .LBB0_289
.LBB0_191:
	.loc	1 0 21 is_stmt 0                ; matmul.py:0:21
	s_wait_alu depctr_sa_sdst(0)
	s_or_b32 exec_lo, exec_lo, s35
	.loc	1 40 39 is_stmt 1               ; matmul.py:40:39
	s_and_b32 s33, s31, s26
	.loc	1 41 21                         ; matmul.py:41:21
	s_wait_alu depctr_sa_sdst(0)
	s_and_saveexec_b32 s35, s33
	s_cbranch_execnz .LBB0_290
.LBB0_192:
	.loc	1 0 21 is_stmt 0                ; matmul.py:0:21
	s_wait_alu depctr_sa_sdst(0)
	s_or_b32 exec_lo, exec_lo, s35
	.loc	1 40 39 is_stmt 1               ; matmul.py:40:39
	s_and_b32 s33, s31, s27
	.loc	1 41 21                         ; matmul.py:41:21
	s_wait_alu depctr_sa_sdst(0)
	s_and_saveexec_b32 s35, s33
	s_cbranch_execnz .LBB0_291
.LBB0_193:
	.loc	1 0 21 is_stmt 0                ; matmul.py:0:21
	s_wait_alu depctr_sa_sdst(0)
	s_or_b32 exec_lo, exec_lo, s35
	.loc	1 40 39 is_stmt 1               ; matmul.py:40:39
	s_and_b32 s33, s31, s28
	.loc	1 41 21                         ; matmul.py:41:21
	s_wait_alu depctr_sa_sdst(0)
	s_and_saveexec_b32 s35, s33
	s_cbranch_execnz .LBB0_292
.LBB0_194:
	.loc	1 0 21 is_stmt 0                ; matmul.py:0:21
	s_wait_alu depctr_sa_sdst(0)
	s_or_b32 exec_lo, exec_lo, s35
	.loc	1 40 39 is_stmt 1               ; matmul.py:40:39
	s_and_b32 s33, s31, s29
	.loc	1 41 21                         ; matmul.py:41:21
	s_wait_alu depctr_sa_sdst(0)
	s_and_saveexec_b32 s35, s33
	s_cbranch_execnz .LBB0_293
.LBB0_195:
	.loc	1 0 21 is_stmt 0                ; matmul.py:0:21
	s_wait_alu depctr_sa_sdst(0)
	s_or_b32 exec_lo, exec_lo, s35
	.loc	1 40 39 is_stmt 1               ; matmul.py:40:39
	s_and_b32 s31, s31, s30
	.loc	1 41 21                         ; matmul.py:41:21
	s_wait_alu depctr_sa_sdst(0)
	s_and_saveexec_b32 s33, s31
	s_cbranch_execz .LBB0_197
.LBB0_196:
	.loc	1 39 52                         ; matmul.py:39:52
	v_add_co_u32 v97, s31, v97, v62
	s_wait_alu depctr_va_sdst(0)
	v_add_co_ci_u32_e64 v98, null, v98, v63, s31
	.loc	1 41 21                         ; matmul.py:41:21
	global_store_b16 v[97:98], v160, off
.LBB0_197:
	.loc	1 0 21 is_stmt 0                ; matmul.py:0:21
	s_wait_alu depctr_sa_sdst(0)
	s_or_b32 exec_lo, exec_lo, s33
	.loc	1 22 38 is_stmt 1               ; matmul.py:22:38
	v_or_b32_e32 v99, 0x80, v96
	s_delay_alu instid0(VALU_DEP_1) | instskip(SKIP_1) | instid1(VALU_DEP_2)
	.loc	1 39 33                         ; matmul.py:39:33
	v_mul_lo_u32 v97, s34, v99
	.loc	1 40 33                         ; matmul.py:40:33
	v_cmp_gt_i32_e64 s31, s38, v99
	.loc	1 39 21                         ; matmul.py:39:21
	v_ashrrev_i32_e32 v98, 31, v97
	s_delay_alu instid0(VALU_DEP_1) | instskip(NEXT) | instid1(VALU_DEP_1)
	v_lshlrev_b64_e32 v[97:98], 1, v[97:98]
	v_add_co_u32 v97, s33, s36, v97
	s_wait_alu depctr_va_sdst(0)
	s_delay_alu instid0(VALU_DEP_2)
	v_add_co_ci_u32_e64 v98, null, s37, v98, s33
	.loc	1 40 39                         ; matmul.py:40:39
	s_and_b32 s33, s31, vcc_lo
	.loc	1 41 21                         ; matmul.py:41:21
	s_wait_alu depctr_sa_sdst(0)
	s_and_saveexec_b32 s35, s33
	s_cbranch_execnz .LBB0_294
; %bb.198:
	.loc	1 0 21 is_stmt 0                ; matmul.py:0:21
	s_wait_alu depctr_sa_sdst(0)
	s_or_b32 exec_lo, exec_lo, s35
	.loc	1 40 39 is_stmt 1               ; matmul.py:40:39
	s_and_b32 s33, s31, s0
	.loc	1 41 21                         ; matmul.py:41:21
	s_wait_alu depctr_sa_sdst(0)
	s_and_saveexec_b32 s35, s33
	s_cbranch_execnz .LBB0_295
.LBB0_199:
	.loc	1 0 21 is_stmt 0                ; matmul.py:0:21
	s_wait_alu depctr_sa_sdst(0)
	s_or_b32 exec_lo, exec_lo, s35
	.loc	1 40 39 is_stmt 1               ; matmul.py:40:39
	s_and_b32 s33, s31, s1
	.loc	1 41 21                         ; matmul.py:41:21
	s_wait_alu depctr_sa_sdst(0)
	s_and_saveexec_b32 s35, s33
	s_cbranch_execnz .LBB0_296
.LBB0_200:
	.loc	1 0 21 is_stmt 0                ; matmul.py:0:21
	s_wait_alu depctr_sa_sdst(0)
	s_or_b32 exec_lo, exec_lo, s35
	.loc	1 40 39 is_stmt 1               ; matmul.py:40:39
	s_and_b32 s33, s31, s2
	.loc	1 41 21                         ; matmul.py:41:21
	s_wait_alu depctr_sa_sdst(0)
	s_and_saveexec_b32 s35, s33
	s_cbranch_execnz .LBB0_297
.LBB0_201:
	.loc	1 0 21 is_stmt 0                ; matmul.py:0:21
	s_wait_alu depctr_sa_sdst(0)
	s_or_b32 exec_lo, exec_lo, s35
	.loc	1 40 39 is_stmt 1               ; matmul.py:40:39
	s_and_b32 s33, s31, s3
	.loc	1 41 21                         ; matmul.py:41:21
	s_wait_alu depctr_sa_sdst(0)
	s_and_saveexec_b32 s35, s33
	s_cbranch_execnz .LBB0_298
.LBB0_202:
	.loc	1 0 21 is_stmt 0                ; matmul.py:0:21
	s_wait_alu depctr_sa_sdst(0)
	s_or_b32 exec_lo, exec_lo, s35
	.loc	1 40 39 is_stmt 1               ; matmul.py:40:39
	s_and_b32 s33, s31, s4
	.loc	1 41 21                         ; matmul.py:41:21
	s_wait_alu depctr_sa_sdst(0)
	s_and_saveexec_b32 s35, s33
	s_cbranch_execnz .LBB0_299
.LBB0_203:
	.loc	1 0 21 is_stmt 0                ; matmul.py:0:21
	s_wait_alu depctr_sa_sdst(0)
	s_or_b32 exec_lo, exec_lo, s35
	.loc	1 40 39 is_stmt 1               ; matmul.py:40:39
	s_and_b32 s33, s31, s5
	.loc	1 41 21                         ; matmul.py:41:21
	s_wait_alu depctr_sa_sdst(0)
	s_and_saveexec_b32 s35, s33
	s_cbranch_execnz .LBB0_300
.LBB0_204:
	.loc	1 0 21 is_stmt 0                ; matmul.py:0:21
	s_wait_alu depctr_sa_sdst(0)
	s_or_b32 exec_lo, exec_lo, s35
	.loc	1 40 39 is_stmt 1               ; matmul.py:40:39
	s_and_b32 s33, s31, s6
	.loc	1 41 21                         ; matmul.py:41:21
	s_wait_alu depctr_sa_sdst(0)
	s_and_saveexec_b32 s35, s33
	s_cbranch_execnz .LBB0_301
.LBB0_205:
	.loc	1 0 21 is_stmt 0                ; matmul.py:0:21
	s_wait_alu depctr_sa_sdst(0)
	s_or_b32 exec_lo, exec_lo, s35
	.loc	1 40 39 is_stmt 1               ; matmul.py:40:39
	s_and_b32 s33, s31, s7
	.loc	1 41 21                         ; matmul.py:41:21
	s_wait_alu depctr_sa_sdst(0)
	s_and_saveexec_b32 s35, s33
	s_cbranch_execnz .LBB0_302
.LBB0_206:
	.loc	1 0 21 is_stmt 0                ; matmul.py:0:21
	s_wait_alu depctr_sa_sdst(0)
	s_or_b32 exec_lo, exec_lo, s35
	.loc	1 40 39 is_stmt 1               ; matmul.py:40:39
	s_and_b32 s33, s31, s8
	.loc	1 41 21                         ; matmul.py:41:21
	s_wait_alu depctr_sa_sdst(0)
	s_and_saveexec_b32 s35, s33
	s_cbranch_execnz .LBB0_303
.LBB0_207:
	.loc	1 0 21 is_stmt 0                ; matmul.py:0:21
	s_wait_alu depctr_sa_sdst(0)
	s_or_b32 exec_lo, exec_lo, s35
	.loc	1 40 39 is_stmt 1               ; matmul.py:40:39
	s_and_b32 s33, s31, s9
	.loc	1 41 21                         ; matmul.py:41:21
	s_wait_alu depctr_sa_sdst(0)
	s_and_saveexec_b32 s35, s33
	s_cbranch_execnz .LBB0_304
.LBB0_208:
	.loc	1 0 21 is_stmt 0                ; matmul.py:0:21
	s_wait_alu depctr_sa_sdst(0)
	s_or_b32 exec_lo, exec_lo, s35
	.loc	1 40 39 is_stmt 1               ; matmul.py:40:39
	s_and_b32 s33, s31, s10
	.loc	1 41 21                         ; matmul.py:41:21
	s_wait_alu depctr_sa_sdst(0)
	s_and_saveexec_b32 s35, s33
	s_cbranch_execnz .LBB0_305
.LBB0_209:
	.loc	1 0 21 is_stmt 0                ; matmul.py:0:21
	s_wait_alu depctr_sa_sdst(0)
	s_or_b32 exec_lo, exec_lo, s35
	.loc	1 40 39 is_stmt 1               ; matmul.py:40:39
	s_and_b32 s33, s31, s11
	.loc	1 41 21                         ; matmul.py:41:21
	s_wait_alu depctr_sa_sdst(0)
	s_and_saveexec_b32 s35, s33
	s_cbranch_execnz .LBB0_306
.LBB0_210:
	.loc	1 0 21 is_stmt 0                ; matmul.py:0:21
	s_wait_alu depctr_sa_sdst(0)
	s_or_b32 exec_lo, exec_lo, s35
	.loc	1 40 39 is_stmt 1               ; matmul.py:40:39
	s_and_b32 s33, s31, s12
	.loc	1 41 21                         ; matmul.py:41:21
	s_wait_alu depctr_sa_sdst(0)
	s_and_saveexec_b32 s35, s33
	s_cbranch_execnz .LBB0_307
.LBB0_211:
	.loc	1 0 21 is_stmt 0                ; matmul.py:0:21
	s_wait_alu depctr_sa_sdst(0)
	s_or_b32 exec_lo, exec_lo, s35
	.loc	1 40 39 is_stmt 1               ; matmul.py:40:39
	s_and_b32 s33, s31, s13
	.loc	1 41 21                         ; matmul.py:41:21
	s_wait_alu depctr_sa_sdst(0)
	s_and_saveexec_b32 s35, s33
	s_cbranch_execnz .LBB0_308
.LBB0_212:
	.loc	1 0 21 is_stmt 0                ; matmul.py:0:21
	s_wait_alu depctr_sa_sdst(0)
	s_or_b32 exec_lo, exec_lo, s35
	.loc	1 40 39 is_stmt 1               ; matmul.py:40:39
	s_and_b32 s33, s31, s14
	.loc	1 41 21                         ; matmul.py:41:21
	s_wait_alu depctr_sa_sdst(0)
	s_and_saveexec_b32 s35, s33
	s_cbranch_execnz .LBB0_309
.LBB0_213:
	.loc	1 0 21 is_stmt 0                ; matmul.py:0:21
	s_wait_alu depctr_sa_sdst(0)
	s_or_b32 exec_lo, exec_lo, s35
	.loc	1 40 39 is_stmt 1               ; matmul.py:40:39
	s_and_b32 s33, s31, s15
	.loc	1 41 21                         ; matmul.py:41:21
	s_wait_alu depctr_sa_sdst(0)
	s_and_saveexec_b32 s35, s33
	s_cbranch_execnz .LBB0_310
.LBB0_214:
	.loc	1 0 21 is_stmt 0                ; matmul.py:0:21
	s_wait_alu depctr_sa_sdst(0)
	s_or_b32 exec_lo, exec_lo, s35
	.loc	1 40 39 is_stmt 1               ; matmul.py:40:39
	s_and_b32 s33, s31, s16
	.loc	1 41 21                         ; matmul.py:41:21
	s_wait_alu depctr_sa_sdst(0)
	s_and_saveexec_b32 s35, s33
	s_cbranch_execnz .LBB0_311
.LBB0_215:
	.loc	1 0 21 is_stmt 0                ; matmul.py:0:21
	s_wait_alu depctr_sa_sdst(0)
	s_or_b32 exec_lo, exec_lo, s35
	.loc	1 40 39 is_stmt 1               ; matmul.py:40:39
	s_and_b32 s33, s31, s17
	.loc	1 41 21                         ; matmul.py:41:21
	s_wait_alu depctr_sa_sdst(0)
	s_and_saveexec_b32 s35, s33
	s_cbranch_execnz .LBB0_312
.LBB0_216:
	.loc	1 0 21 is_stmt 0                ; matmul.py:0:21
	s_wait_alu depctr_sa_sdst(0)
	s_or_b32 exec_lo, exec_lo, s35
	.loc	1 40 39 is_stmt 1               ; matmul.py:40:39
	s_and_b32 s33, s31, s18
	.loc	1 41 21                         ; matmul.py:41:21
	s_wait_alu depctr_sa_sdst(0)
	s_and_saveexec_b32 s35, s33
	s_cbranch_execnz .LBB0_313
.LBB0_217:
	.loc	1 0 21 is_stmt 0                ; matmul.py:0:21
	s_wait_alu depctr_sa_sdst(0)
	s_or_b32 exec_lo, exec_lo, s35
	.loc	1 40 39 is_stmt 1               ; matmul.py:40:39
	s_and_b32 s33, s31, s19
	.loc	1 41 21                         ; matmul.py:41:21
	s_wait_alu depctr_sa_sdst(0)
	s_and_saveexec_b32 s35, s33
	s_cbranch_execnz .LBB0_314
.LBB0_218:
	.loc	1 0 21 is_stmt 0                ; matmul.py:0:21
	s_wait_alu depctr_sa_sdst(0)
	s_or_b32 exec_lo, exec_lo, s35
	.loc	1 40 39 is_stmt 1               ; matmul.py:40:39
	s_and_b32 s33, s31, s20
	.loc	1 41 21                         ; matmul.py:41:21
	s_wait_alu depctr_sa_sdst(0)
	s_and_saveexec_b32 s35, s33
	s_cbranch_execnz .LBB0_315
.LBB0_219:
	.loc	1 0 21 is_stmt 0                ; matmul.py:0:21
	s_wait_alu depctr_sa_sdst(0)
	s_or_b32 exec_lo, exec_lo, s35
	.loc	1 40 39 is_stmt 1               ; matmul.py:40:39
	s_and_b32 s33, s31, s21
	.loc	1 41 21                         ; matmul.py:41:21
	s_wait_alu depctr_sa_sdst(0)
	s_and_saveexec_b32 s35, s33
	s_cbranch_execnz .LBB0_316
.LBB0_220:
	.loc	1 0 21 is_stmt 0                ; matmul.py:0:21
	s_wait_alu depctr_sa_sdst(0)
	s_or_b32 exec_lo, exec_lo, s35
	.loc	1 40 39 is_stmt 1               ; matmul.py:40:39
	s_and_b32 s33, s31, s22
	.loc	1 41 21                         ; matmul.py:41:21
	s_wait_alu depctr_sa_sdst(0)
	s_and_saveexec_b32 s35, s33
	s_cbranch_execnz .LBB0_317
.LBB0_221:
	.loc	1 0 21 is_stmt 0                ; matmul.py:0:21
	s_wait_alu depctr_sa_sdst(0)
	s_or_b32 exec_lo, exec_lo, s35
	.loc	1 40 39 is_stmt 1               ; matmul.py:40:39
	s_and_b32 s33, s31, s23
	.loc	1 41 21                         ; matmul.py:41:21
	s_wait_alu depctr_sa_sdst(0)
	s_and_saveexec_b32 s35, s33
	s_cbranch_execnz .LBB0_318
.LBB0_222:
	.loc	1 0 21 is_stmt 0                ; matmul.py:0:21
	s_wait_alu depctr_sa_sdst(0)
	s_or_b32 exec_lo, exec_lo, s35
	.loc	1 40 39 is_stmt 1               ; matmul.py:40:39
	s_and_b32 s33, s31, s24
	.loc	1 41 21                         ; matmul.py:41:21
	s_wait_alu depctr_sa_sdst(0)
	s_and_saveexec_b32 s35, s33
	s_cbranch_execnz .LBB0_319
.LBB0_223:
	.loc	1 0 21 is_stmt 0                ; matmul.py:0:21
	s_wait_alu depctr_sa_sdst(0)
	s_or_b32 exec_lo, exec_lo, s35
	.loc	1 40 39 is_stmt 1               ; matmul.py:40:39
	s_and_b32 s33, s31, s25
	.loc	1 41 21                         ; matmul.py:41:21
	s_wait_alu depctr_sa_sdst(0)
	s_and_saveexec_b32 s35, s33
	s_cbranch_execnz .LBB0_320
.LBB0_224:
	.loc	1 0 21 is_stmt 0                ; matmul.py:0:21
	s_wait_alu depctr_sa_sdst(0)
	s_or_b32 exec_lo, exec_lo, s35
	.loc	1 40 39 is_stmt 1               ; matmul.py:40:39
	s_and_b32 s33, s31, s26
	.loc	1 41 21                         ; matmul.py:41:21
	s_wait_alu depctr_sa_sdst(0)
	s_and_saveexec_b32 s35, s33
	s_cbranch_execnz .LBB0_321
.LBB0_225:
	.loc	1 0 21 is_stmt 0                ; matmul.py:0:21
	s_wait_alu depctr_sa_sdst(0)
	s_or_b32 exec_lo, exec_lo, s35
	.loc	1 40 39 is_stmt 1               ; matmul.py:40:39
	s_and_b32 s33, s31, s27
	.loc	1 41 21                         ; matmul.py:41:21
	s_wait_alu depctr_sa_sdst(0)
	s_and_saveexec_b32 s35, s33
	s_cbranch_execnz .LBB0_322
.LBB0_226:
	.loc	1 0 21 is_stmt 0                ; matmul.py:0:21
	s_wait_alu depctr_sa_sdst(0)
	s_or_b32 exec_lo, exec_lo, s35
	.loc	1 40 39 is_stmt 1               ; matmul.py:40:39
	s_and_b32 s33, s31, s28
	.loc	1 41 21                         ; matmul.py:41:21
	s_wait_alu depctr_sa_sdst(0)
	s_and_saveexec_b32 s35, s33
	s_cbranch_execnz .LBB0_323
.LBB0_227:
	.loc	1 0 21 is_stmt 0                ; matmul.py:0:21
	s_wait_alu depctr_sa_sdst(0)
	s_or_b32 exec_lo, exec_lo, s35
	.loc	1 40 39 is_stmt 1               ; matmul.py:40:39
	s_and_b32 s33, s31, s29
	.loc	1 41 21                         ; matmul.py:41:21
	s_wait_alu depctr_sa_sdst(0)
	s_and_saveexec_b32 s35, s33
	s_cbranch_execnz .LBB0_324
.LBB0_228:
	.loc	1 0 21 is_stmt 0                ; matmul.py:0:21
	s_wait_alu depctr_sa_sdst(0)
	s_or_b32 exec_lo, exec_lo, s35
	.loc	1 40 39 is_stmt 1               ; matmul.py:40:39
	s_and_b32 s31, s31, s30
	.loc	1 41 21                         ; matmul.py:41:21
	s_wait_alu depctr_sa_sdst(0)
	s_and_saveexec_b32 s33, s31
	s_cbranch_execz .LBB0_230
.LBB0_229:
	.loc	1 39 52                         ; matmul.py:39:52
	v_add_co_u32 v97, s31, v97, v62
	s_wait_alu depctr_va_sdst(0)
	v_add_co_ci_u32_e64 v98, null, v98, v63, s31
	.loc	1 41 21                         ; matmul.py:41:21
	global_store_b16 v[97:98], v128, off
.LBB0_230:
	.loc	1 0 21 is_stmt 0                ; matmul.py:0:21
	s_wait_alu depctr_sa_sdst(0)
	s_or_b32 exec_lo, exec_lo, s33
	.loc	1 22 38 is_stmt 1               ; matmul.py:22:38
	v_or_b32_e32 v98, 0xc0, v96
	s_delay_alu instid0(VALU_DEP_1) | instskip(SKIP_3) | instid1(VALU_DEP_1)
	.loc	1 39 33                         ; matmul.py:39:33
	v_mul_lo_u32 v96, s34, v98
	.loc	1 40 33                         ; matmul.py:40:33
	v_cmp_gt_i32_e64 s31, s38, v98
	.loc	1 40 39 is_stmt 0               ; matmul.py:40:39
	s_and_b32 s34, s31, vcc_lo
	.loc	1 39 21 is_stmt 1               ; matmul.py:39:21
	v_ashrrev_i32_e32 v97, 31, v96
	v_lshlrev_b64_e32 v[96:97], 1, v[96:97]
	s_delay_alu instid0(VALU_DEP_1) | instskip(SKIP_1) | instid1(VALU_DEP_2)
	v_add_co_u32 v96, s33, s36, v96
	s_wait_alu depctr_va_sdst(0)
	v_add_co_ci_u32_e64 v97, null, s37, v97, s33
	.loc	1 41 21                         ; matmul.py:41:21
	s_wait_alu depctr_sa_sdst(0)
	s_and_saveexec_b32 s33, s34
	s_cbranch_execnz .LBB0_325
; %bb.231:
	.loc	1 0 21 is_stmt 0                ; matmul.py:0:21
	s_wait_alu depctr_sa_sdst(0)
	s_or_b32 exec_lo, exec_lo, s33
	.loc	1 40 39 is_stmt 1               ; matmul.py:40:39
	s_and_b32 s33, s31, s0
	.loc	1 41 21                         ; matmul.py:41:21
	s_wait_alu depctr_sa_sdst(0)
	s_and_saveexec_b32 s0, s33
	s_cbranch_execnz .LBB0_326
.LBB0_232:
	.loc	1 0 21 is_stmt 0                ; matmul.py:0:21
	s_wait_alu depctr_sa_sdst(0)
	s_or_b32 exec_lo, exec_lo, s0
	.loc	1 40 39 is_stmt 1               ; matmul.py:40:39
	s_and_b32 s1, s31, s1
	.loc	1 41 21                         ; matmul.py:41:21
	s_wait_alu depctr_sa_sdst(0)
	s_and_saveexec_b32 s0, s1
	s_cbranch_execnz .LBB0_327
.LBB0_233:
	.loc	1 0 21 is_stmt 0                ; matmul.py:0:21
	s_wait_alu depctr_sa_sdst(0)
	s_or_b32 exec_lo, exec_lo, s0
	.loc	1 40 39 is_stmt 1               ; matmul.py:40:39
	s_and_b32 s1, s31, s2
	.loc	1 41 21                         ; matmul.py:41:21
	s_wait_alu depctr_sa_sdst(0)
	s_and_saveexec_b32 s0, s1
	s_cbranch_execnz .LBB0_328
.LBB0_234:
	.loc	1 0 21 is_stmt 0                ; matmul.py:0:21
	s_wait_alu depctr_sa_sdst(0)
	s_or_b32 exec_lo, exec_lo, s0
	.loc	1 40 39 is_stmt 1               ; matmul.py:40:39
	s_and_b32 s1, s31, s3
	.loc	1 41 21                         ; matmul.py:41:21
	s_wait_alu depctr_sa_sdst(0)
	s_and_saveexec_b32 s0, s1
	s_cbranch_execnz .LBB0_329
.LBB0_235:
	.loc	1 0 21 is_stmt 0                ; matmul.py:0:21
	s_wait_alu depctr_sa_sdst(0)
	s_or_b32 exec_lo, exec_lo, s0
	.loc	1 40 39 is_stmt 1               ; matmul.py:40:39
	s_and_b32 s1, s31, s4
	.loc	1 41 21                         ; matmul.py:41:21
	s_wait_alu depctr_sa_sdst(0)
	s_and_saveexec_b32 s0, s1
	s_cbranch_execnz .LBB0_330
.LBB0_236:
	.loc	1 0 21 is_stmt 0                ; matmul.py:0:21
	s_wait_alu depctr_sa_sdst(0)
	s_or_b32 exec_lo, exec_lo, s0
	.loc	1 40 39 is_stmt 1               ; matmul.py:40:39
	s_and_b32 s1, s31, s5
	.loc	1 41 21                         ; matmul.py:41:21
	s_wait_alu depctr_sa_sdst(0)
	s_and_saveexec_b32 s0, s1
	s_cbranch_execnz .LBB0_331
.LBB0_237:
	.loc	1 0 21 is_stmt 0                ; matmul.py:0:21
	s_wait_alu depctr_sa_sdst(0)
	s_or_b32 exec_lo, exec_lo, s0
	.loc	1 40 39 is_stmt 1               ; matmul.py:40:39
	s_and_b32 s1, s31, s6
	.loc	1 41 21                         ; matmul.py:41:21
	s_wait_alu depctr_sa_sdst(0)
	s_and_saveexec_b32 s0, s1
	s_cbranch_execnz .LBB0_332
.LBB0_238:
	.loc	1 0 21 is_stmt 0                ; matmul.py:0:21
	s_wait_alu depctr_sa_sdst(0)
	s_or_b32 exec_lo, exec_lo, s0
	.loc	1 40 39 is_stmt 1               ; matmul.py:40:39
	s_and_b32 s1, s31, s7
	.loc	1 41 21                         ; matmul.py:41:21
	s_wait_alu depctr_sa_sdst(0)
	s_and_saveexec_b32 s0, s1
	s_cbranch_execnz .LBB0_333
.LBB0_239:
	.loc	1 0 21 is_stmt 0                ; matmul.py:0:21
	s_wait_alu depctr_sa_sdst(0)
	s_or_b32 exec_lo, exec_lo, s0
	.loc	1 40 39 is_stmt 1               ; matmul.py:40:39
	s_and_b32 s1, s31, s8
	.loc	1 41 21                         ; matmul.py:41:21
	s_wait_alu depctr_sa_sdst(0)
	s_and_saveexec_b32 s0, s1
	s_cbranch_execnz .LBB0_334
.LBB0_240:
	.loc	1 0 21 is_stmt 0                ; matmul.py:0:21
	s_wait_alu depctr_sa_sdst(0)
	s_or_b32 exec_lo, exec_lo, s0
	.loc	1 40 39 is_stmt 1               ; matmul.py:40:39
	s_and_b32 s1, s31, s9
	.loc	1 41 21                         ; matmul.py:41:21
	s_wait_alu depctr_sa_sdst(0)
	s_and_saveexec_b32 s0, s1
	s_cbranch_execnz .LBB0_335
.LBB0_241:
	.loc	1 0 21 is_stmt 0                ; matmul.py:0:21
	s_wait_alu depctr_sa_sdst(0)
	s_or_b32 exec_lo, exec_lo, s0
	.loc	1 40 39 is_stmt 1               ; matmul.py:40:39
	s_and_b32 s1, s31, s10
	.loc	1 41 21                         ; matmul.py:41:21
	s_wait_alu depctr_sa_sdst(0)
	s_and_saveexec_b32 s0, s1
	s_cbranch_execnz .LBB0_336
.LBB0_242:
	.loc	1 0 21 is_stmt 0                ; matmul.py:0:21
	s_wait_alu depctr_sa_sdst(0)
	s_or_b32 exec_lo, exec_lo, s0
	.loc	1 40 39 is_stmt 1               ; matmul.py:40:39
	s_and_b32 s1, s31, s11
	.loc	1 41 21                         ; matmul.py:41:21
	s_wait_alu depctr_sa_sdst(0)
	s_and_saveexec_b32 s0, s1
	s_cbranch_execnz .LBB0_337
.LBB0_243:
	.loc	1 0 21 is_stmt 0                ; matmul.py:0:21
	s_wait_alu depctr_sa_sdst(0)
	s_or_b32 exec_lo, exec_lo, s0
	.loc	1 40 39 is_stmt 1               ; matmul.py:40:39
	s_and_b32 s1, s31, s12
	.loc	1 41 21                         ; matmul.py:41:21
	s_wait_alu depctr_sa_sdst(0)
	s_and_saveexec_b32 s0, s1
	s_cbranch_execnz .LBB0_338
.LBB0_244:
	.loc	1 0 21 is_stmt 0                ; matmul.py:0:21
	s_wait_alu depctr_sa_sdst(0)
	s_or_b32 exec_lo, exec_lo, s0
	.loc	1 40 39 is_stmt 1               ; matmul.py:40:39
	s_and_b32 s1, s31, s13
	.loc	1 41 21                         ; matmul.py:41:21
	s_wait_alu depctr_sa_sdst(0)
	s_and_saveexec_b32 s0, s1
	s_cbranch_execnz .LBB0_339
.LBB0_245:
	.loc	1 0 21 is_stmt 0                ; matmul.py:0:21
	s_wait_alu depctr_sa_sdst(0)
	s_or_b32 exec_lo, exec_lo, s0
	.loc	1 40 39 is_stmt 1               ; matmul.py:40:39
	s_and_b32 s1, s31, s14
	.loc	1 41 21                         ; matmul.py:41:21
	s_wait_alu depctr_sa_sdst(0)
	s_and_saveexec_b32 s0, s1
	s_cbranch_execnz .LBB0_340
.LBB0_246:
	.loc	1 0 21 is_stmt 0                ; matmul.py:0:21
	s_wait_alu depctr_sa_sdst(0)
	s_or_b32 exec_lo, exec_lo, s0
	.loc	1 40 39 is_stmt 1               ; matmul.py:40:39
	s_and_b32 s1, s31, s15
	.loc	1 41 21                         ; matmul.py:41:21
	s_wait_alu depctr_sa_sdst(0)
	s_and_saveexec_b32 s0, s1
	s_cbranch_execnz .LBB0_341
.LBB0_247:
	.loc	1 0 21 is_stmt 0                ; matmul.py:0:21
	s_wait_alu depctr_sa_sdst(0)
	s_or_b32 exec_lo, exec_lo, s0
	.loc	1 40 39 is_stmt 1               ; matmul.py:40:39
	s_and_b32 s1, s31, s16
	.loc	1 41 21                         ; matmul.py:41:21
	s_wait_alu depctr_sa_sdst(0)
	s_and_saveexec_b32 s0, s1
	s_cbranch_execnz .LBB0_342
.LBB0_248:
	.loc	1 0 21 is_stmt 0                ; matmul.py:0:21
	s_wait_alu depctr_sa_sdst(0)
	s_or_b32 exec_lo, exec_lo, s0
	.loc	1 40 39 is_stmt 1               ; matmul.py:40:39
	s_and_b32 s1, s31, s17
	.loc	1 41 21                         ; matmul.py:41:21
	s_wait_alu depctr_sa_sdst(0)
	s_and_saveexec_b32 s0, s1
	s_cbranch_execnz .LBB0_343
.LBB0_249:
	.loc	1 0 21 is_stmt 0                ; matmul.py:0:21
	s_wait_alu depctr_sa_sdst(0)
	s_or_b32 exec_lo, exec_lo, s0
	.loc	1 40 39 is_stmt 1               ; matmul.py:40:39
	s_and_b32 s1, s31, s18
	.loc	1 41 21                         ; matmul.py:41:21
	s_wait_alu depctr_sa_sdst(0)
	s_and_saveexec_b32 s0, s1
	s_cbranch_execnz .LBB0_344
.LBB0_250:
	.loc	1 0 21 is_stmt 0                ; matmul.py:0:21
	s_wait_alu depctr_sa_sdst(0)
	s_or_b32 exec_lo, exec_lo, s0
	.loc	1 40 39 is_stmt 1               ; matmul.py:40:39
	s_and_b32 s1, s31, s19
	.loc	1 41 21                         ; matmul.py:41:21
	s_wait_alu depctr_sa_sdst(0)
	s_and_saveexec_b32 s0, s1
	s_cbranch_execnz .LBB0_345
.LBB0_251:
	.loc	1 0 21 is_stmt 0                ; matmul.py:0:21
	s_wait_alu depctr_sa_sdst(0)
	s_or_b32 exec_lo, exec_lo, s0
	.loc	1 40 39 is_stmt 1               ; matmul.py:40:39
	s_and_b32 s1, s31, s20
	.loc	1 41 21                         ; matmul.py:41:21
	s_wait_alu depctr_sa_sdst(0)
	s_and_saveexec_b32 s0, s1
	s_cbranch_execnz .LBB0_346
.LBB0_252:
	.loc	1 0 21 is_stmt 0                ; matmul.py:0:21
	s_wait_alu depctr_sa_sdst(0)
	s_or_b32 exec_lo, exec_lo, s0
	.loc	1 40 39 is_stmt 1               ; matmul.py:40:39
	s_and_b32 s1, s31, s21
	.loc	1 41 21                         ; matmul.py:41:21
	s_wait_alu depctr_sa_sdst(0)
	s_and_saveexec_b32 s0, s1
	s_cbranch_execnz .LBB0_347
.LBB0_253:
	.loc	1 0 21 is_stmt 0                ; matmul.py:0:21
	s_wait_alu depctr_sa_sdst(0)
	s_or_b32 exec_lo, exec_lo, s0
	.loc	1 40 39 is_stmt 1               ; matmul.py:40:39
	s_and_b32 s1, s31, s22
	.loc	1 41 21                         ; matmul.py:41:21
	s_wait_alu depctr_sa_sdst(0)
	s_and_saveexec_b32 s0, s1
	s_cbranch_execnz .LBB0_348
.LBB0_254:
	.loc	1 0 21 is_stmt 0                ; matmul.py:0:21
	s_wait_alu depctr_sa_sdst(0)
	s_or_b32 exec_lo, exec_lo, s0
	.loc	1 40 39 is_stmt 1               ; matmul.py:40:39
	s_and_b32 s1, s31, s23
	.loc	1 41 21                         ; matmul.py:41:21
	s_wait_alu depctr_sa_sdst(0)
	s_and_saveexec_b32 s0, s1
	s_cbranch_execnz .LBB0_349
.LBB0_255:
	.loc	1 0 21 is_stmt 0                ; matmul.py:0:21
	s_wait_alu depctr_sa_sdst(0)
	s_or_b32 exec_lo, exec_lo, s0
	.loc	1 40 39 is_stmt 1               ; matmul.py:40:39
	s_and_b32 s1, s31, s24
	.loc	1 41 21                         ; matmul.py:41:21
	s_wait_alu depctr_sa_sdst(0)
	s_and_saveexec_b32 s0, s1
	s_cbranch_execnz .LBB0_350
.LBB0_256:
	.loc	1 0 21 is_stmt 0                ; matmul.py:0:21
	s_wait_alu depctr_sa_sdst(0)
	s_or_b32 exec_lo, exec_lo, s0
	.loc	1 40 39 is_stmt 1               ; matmul.py:40:39
	s_and_b32 s1, s31, s25
	.loc	1 41 21                         ; matmul.py:41:21
	s_wait_alu depctr_sa_sdst(0)
	s_and_saveexec_b32 s0, s1
	s_cbranch_execnz .LBB0_351
.LBB0_257:
	.loc	1 0 21 is_stmt 0                ; matmul.py:0:21
	s_wait_alu depctr_sa_sdst(0)
	s_or_b32 exec_lo, exec_lo, s0
	.loc	1 40 39 is_stmt 1               ; matmul.py:40:39
	s_and_b32 s1, s31, s26
	.loc	1 41 21                         ; matmul.py:41:21
	s_wait_alu depctr_sa_sdst(0)
	s_and_saveexec_b32 s0, s1
	s_cbranch_execnz .LBB0_352
.LBB0_258:
	.loc	1 0 21 is_stmt 0                ; matmul.py:0:21
	s_wait_alu depctr_sa_sdst(0)
	s_or_b32 exec_lo, exec_lo, s0
	.loc	1 40 39 is_stmt 1               ; matmul.py:40:39
	s_and_b32 s1, s31, s27
	.loc	1 41 21                         ; matmul.py:41:21
	s_wait_alu depctr_sa_sdst(0)
	s_and_saveexec_b32 s0, s1
	s_cbranch_execnz .LBB0_353
.LBB0_259:
	.loc	1 0 21 is_stmt 0                ; matmul.py:0:21
	s_wait_alu depctr_sa_sdst(0)
	s_or_b32 exec_lo, exec_lo, s0
	.loc	1 40 39 is_stmt 1               ; matmul.py:40:39
	s_and_b32 s1, s31, s28
	.loc	1 41 21                         ; matmul.py:41:21
	s_wait_alu depctr_sa_sdst(0)
	s_and_saveexec_b32 s0, s1
	s_cbranch_execnz .LBB0_354
.LBB0_260:
	.loc	1 0 21 is_stmt 0                ; matmul.py:0:21
	s_wait_alu depctr_sa_sdst(0)
	s_or_b32 exec_lo, exec_lo, s0
	.loc	1 40 39 is_stmt 1               ; matmul.py:40:39
	s_and_b32 s1, s31, s29
	.loc	1 41 21                         ; matmul.py:41:21
	s_wait_alu depctr_sa_sdst(0)
	s_and_saveexec_b32 s0, s1
	s_cbranch_execnz .LBB0_355
.LBB0_261:
	.loc	1 0 21 is_stmt 0                ; matmul.py:0:21
	s_wait_alu depctr_sa_sdst(0)
	s_or_b32 exec_lo, exec_lo, s0
	.loc	1 40 39 is_stmt 1               ; matmul.py:40:39
	s_and_b32 s0, s31, s30
	.loc	1 41 21                         ; matmul.py:41:21
	s_wait_alu depctr_sa_sdst(0)
	s_and_saveexec_b32 s1, s0
	s_cbranch_execnz .LBB0_356
.LBB0_262:
	.loc	1 41 4 is_stmt 0                ; matmul.py:41:4
	s_nop 0
	s_sendmsg sendmsg(MSG_DEALLOC_VGPRS)
	s_endpgm
.LBB0_263:
	.loc	1 39 52 is_stmt 1               ; matmul.py:39:52
	v_add_co_u32 v99, s33, v97, v0
	s_wait_alu depctr_va_sdst(0)
	v_add_co_ci_u32_e64 v100, null, v98, v1, s33
	.loc	1 41 21                         ; matmul.py:41:21
	global_store_b16 v[99:100], v191, off
	s_wait_alu depctr_sa_sdst(0)
	s_or_b32 exec_lo, exec_lo, s35
	.loc	1 40 39                         ; matmul.py:40:39
	s_and_b32 s33, s31, s0
	.loc	1 41 21                         ; matmul.py:41:21
	s_wait_alu depctr_sa_sdst(0)
	s_and_saveexec_b32 s35, s33
	s_cbranch_execz .LBB0_166
.LBB0_264:
	.loc	1 39 52                         ; matmul.py:39:52
	v_add_co_u32 v99, s33, v97, v2
	s_wait_alu depctr_va_sdst(0)
	v_add_co_ci_u32_e64 v100, null, v98, v3, s33
	.loc	1 41 21                         ; matmul.py:41:21
	global_store_b16 v[99:100], v190, off
	s_wait_alu depctr_sa_sdst(0)
	s_or_b32 exec_lo, exec_lo, s35
	.loc	1 40 39                         ; matmul.py:40:39
	s_and_b32 s33, s31, s1
	.loc	1 41 21                         ; matmul.py:41:21
	s_wait_alu depctr_sa_sdst(0)
	s_and_saveexec_b32 s35, s33
	s_cbranch_execz .LBB0_167
.LBB0_265:
	.loc	1 39 52                         ; matmul.py:39:52
	v_add_co_u32 v99, s33, v97, v4
	s_wait_alu depctr_va_sdst(0)
	v_add_co_ci_u32_e64 v100, null, v98, v5, s33
	.loc	1 41 21                         ; matmul.py:41:21
	global_store_b16 v[99:100], v189, off
	s_wait_alu depctr_sa_sdst(0)
	s_or_b32 exec_lo, exec_lo, s35
	.loc	1 40 39                         ; matmul.py:40:39
	s_and_b32 s33, s31, s2
	.loc	1 41 21                         ; matmul.py:41:21
	s_wait_alu depctr_sa_sdst(0)
	s_and_saveexec_b32 s35, s33
	s_cbranch_execz .LBB0_168
.LBB0_266:
	.loc	1 39 52                         ; matmul.py:39:52
	v_add_co_u32 v99, s33, v97, v6
	s_wait_alu depctr_va_sdst(0)
	v_add_co_ci_u32_e64 v100, null, v98, v7, s33
	.loc	1 41 21                         ; matmul.py:41:21
	global_store_b16 v[99:100], v188, off
	s_wait_alu depctr_sa_sdst(0)
	s_or_b32 exec_lo, exec_lo, s35
	.loc	1 40 39                         ; matmul.py:40:39
	s_and_b32 s33, s31, s3
	.loc	1 41 21                         ; matmul.py:41:21
	s_wait_alu depctr_sa_sdst(0)
	s_and_saveexec_b32 s35, s33
	s_cbranch_execz .LBB0_169
.LBB0_267:
	.loc	1 39 52                         ; matmul.py:39:52
	v_add_co_u32 v99, s33, v97, v8
	s_wait_alu depctr_va_sdst(0)
	v_add_co_ci_u32_e64 v100, null, v98, v9, s33
	.loc	1 41 21                         ; matmul.py:41:21
	global_store_b16 v[99:100], v187, off
	s_wait_alu depctr_sa_sdst(0)
	s_or_b32 exec_lo, exec_lo, s35
	.loc	1 40 39                         ; matmul.py:40:39
	s_and_b32 s33, s31, s4
	.loc	1 41 21                         ; matmul.py:41:21
	s_wait_alu depctr_sa_sdst(0)
	s_and_saveexec_b32 s35, s33
	s_cbranch_execz .LBB0_170
.LBB0_268:
	.loc	1 39 52                         ; matmul.py:39:52
	v_add_co_u32 v99, s33, v97, v10
	s_wait_alu depctr_va_sdst(0)
	v_add_co_ci_u32_e64 v100, null, v98, v11, s33
	.loc	1 41 21                         ; matmul.py:41:21
	global_store_b16 v[99:100], v186, off
	s_wait_alu depctr_sa_sdst(0)
	s_or_b32 exec_lo, exec_lo, s35
	.loc	1 40 39                         ; matmul.py:40:39
	s_and_b32 s33, s31, s5
	.loc	1 41 21                         ; matmul.py:41:21
	s_wait_alu depctr_sa_sdst(0)
	s_and_saveexec_b32 s35, s33
	s_cbranch_execz .LBB0_171
.LBB0_269:
	.loc	1 39 52                         ; matmul.py:39:52
	v_add_co_u32 v99, s33, v97, v12
	s_wait_alu depctr_va_sdst(0)
	v_add_co_ci_u32_e64 v100, null, v98, v13, s33
	.loc	1 41 21                         ; matmul.py:41:21
	global_store_b16 v[99:100], v185, off
	s_wait_alu depctr_sa_sdst(0)
	s_or_b32 exec_lo, exec_lo, s35
	.loc	1 40 39                         ; matmul.py:40:39
	s_and_b32 s33, s31, s6
	.loc	1 41 21                         ; matmul.py:41:21
	s_wait_alu depctr_sa_sdst(0)
	s_and_saveexec_b32 s35, s33
	s_cbranch_execz .LBB0_172
.LBB0_270:
	.loc	1 39 52                         ; matmul.py:39:52
	v_add_co_u32 v99, s33, v97, v14
	s_wait_alu depctr_va_sdst(0)
	v_add_co_ci_u32_e64 v100, null, v98, v15, s33
	.loc	1 41 21                         ; matmul.py:41:21
	global_store_b16 v[99:100], v184, off
	s_wait_alu depctr_sa_sdst(0)
	s_or_b32 exec_lo, exec_lo, s35
	.loc	1 40 39                         ; matmul.py:40:39
	s_and_b32 s33, s31, s7
	.loc	1 41 21                         ; matmul.py:41:21
	s_wait_alu depctr_sa_sdst(0)
	s_and_saveexec_b32 s35, s33
	s_cbranch_execz .LBB0_173
.LBB0_271:
	.loc	1 39 52                         ; matmul.py:39:52
	v_add_co_u32 v99, s33, v97, v16
	s_wait_alu depctr_va_sdst(0)
	v_add_co_ci_u32_e64 v100, null, v98, v17, s33
	.loc	1 41 21                         ; matmul.py:41:21
	global_store_b16 v[99:100], v183, off
	s_wait_alu depctr_sa_sdst(0)
	s_or_b32 exec_lo, exec_lo, s35
	.loc	1 40 39                         ; matmul.py:40:39
	s_and_b32 s33, s31, s8
	.loc	1 41 21                         ; matmul.py:41:21
	s_wait_alu depctr_sa_sdst(0)
	s_and_saveexec_b32 s35, s33
	s_cbranch_execz .LBB0_174
.LBB0_272:
	.loc	1 39 52                         ; matmul.py:39:52
	v_add_co_u32 v99, s33, v97, v18
	s_wait_alu depctr_va_sdst(0)
	v_add_co_ci_u32_e64 v100, null, v98, v19, s33
	.loc	1 41 21                         ; matmul.py:41:21
	global_store_b16 v[99:100], v182, off
	s_wait_alu depctr_sa_sdst(0)
	s_or_b32 exec_lo, exec_lo, s35
	.loc	1 40 39                         ; matmul.py:40:39
	s_and_b32 s33, s31, s9
	.loc	1 41 21                         ; matmul.py:41:21
	s_wait_alu depctr_sa_sdst(0)
	s_and_saveexec_b32 s35, s33
	s_cbranch_execz .LBB0_175
.LBB0_273:
	.loc	1 39 52                         ; matmul.py:39:52
	v_add_co_u32 v99, s33, v97, v20
	s_wait_alu depctr_va_sdst(0)
	v_add_co_ci_u32_e64 v100, null, v98, v21, s33
	.loc	1 41 21                         ; matmul.py:41:21
	global_store_b16 v[99:100], v181, off
	s_wait_alu depctr_sa_sdst(0)
	s_or_b32 exec_lo, exec_lo, s35
	.loc	1 40 39                         ; matmul.py:40:39
	s_and_b32 s33, s31, s10
	.loc	1 41 21                         ; matmul.py:41:21
	s_wait_alu depctr_sa_sdst(0)
	s_and_saveexec_b32 s35, s33
	s_cbranch_execz .LBB0_176
.LBB0_274:
	.loc	1 39 52                         ; matmul.py:39:52
	v_add_co_u32 v99, s33, v97, v22
	s_wait_alu depctr_va_sdst(0)
	v_add_co_ci_u32_e64 v100, null, v98, v23, s33
	.loc	1 41 21                         ; matmul.py:41:21
	global_store_b16 v[99:100], v180, off
	s_wait_alu depctr_sa_sdst(0)
	s_or_b32 exec_lo, exec_lo, s35
	.loc	1 40 39                         ; matmul.py:40:39
	s_and_b32 s33, s31, s11
	.loc	1 41 21                         ; matmul.py:41:21
	s_wait_alu depctr_sa_sdst(0)
	s_and_saveexec_b32 s35, s33
	s_cbranch_execz .LBB0_177
.LBB0_275:
	.loc	1 39 52                         ; matmul.py:39:52
	v_add_co_u32 v99, s33, v97, v24
	s_wait_alu depctr_va_sdst(0)
	v_add_co_ci_u32_e64 v100, null, v98, v25, s33
	.loc	1 41 21                         ; matmul.py:41:21
	global_store_b16 v[99:100], v179, off
	s_wait_alu depctr_sa_sdst(0)
	s_or_b32 exec_lo, exec_lo, s35
	.loc	1 40 39                         ; matmul.py:40:39
	s_and_b32 s33, s31, s12
	.loc	1 41 21                         ; matmul.py:41:21
	s_wait_alu depctr_sa_sdst(0)
	s_and_saveexec_b32 s35, s33
	s_cbranch_execz .LBB0_178
.LBB0_276:
	.loc	1 39 52                         ; matmul.py:39:52
	v_add_co_u32 v99, s33, v97, v26
	s_wait_alu depctr_va_sdst(0)
	v_add_co_ci_u32_e64 v100, null, v98, v27, s33
	.loc	1 41 21                         ; matmul.py:41:21
	global_store_b16 v[99:100], v178, off
	s_wait_alu depctr_sa_sdst(0)
	s_or_b32 exec_lo, exec_lo, s35
	.loc	1 40 39                         ; matmul.py:40:39
	s_and_b32 s33, s31, s13
	.loc	1 41 21                         ; matmul.py:41:21
	s_wait_alu depctr_sa_sdst(0)
	s_and_saveexec_b32 s35, s33
	s_cbranch_execz .LBB0_179
.LBB0_277:
	.loc	1 39 52                         ; matmul.py:39:52
	v_add_co_u32 v99, s33, v97, v28
	s_wait_alu depctr_va_sdst(0)
	v_add_co_ci_u32_e64 v100, null, v98, v29, s33
	.loc	1 41 21                         ; matmul.py:41:21
	global_store_b16 v[99:100], v177, off
	s_wait_alu depctr_sa_sdst(0)
	s_or_b32 exec_lo, exec_lo, s35
	.loc	1 40 39                         ; matmul.py:40:39
	s_and_b32 s33, s31, s14
	.loc	1 41 21                         ; matmul.py:41:21
	s_wait_alu depctr_sa_sdst(0)
	s_and_saveexec_b32 s35, s33
	s_cbranch_execz .LBB0_180
.LBB0_278:
	.loc	1 39 52                         ; matmul.py:39:52
	v_add_co_u32 v99, s33, v97, v30
	s_wait_alu depctr_va_sdst(0)
	v_add_co_ci_u32_e64 v100, null, v98, v31, s33
	.loc	1 41 21                         ; matmul.py:41:21
	global_store_b16 v[99:100], v176, off
	s_wait_alu depctr_sa_sdst(0)
	s_or_b32 exec_lo, exec_lo, s35
	.loc	1 40 39                         ; matmul.py:40:39
	s_and_b32 s33, s31, s15
	.loc	1 41 21                         ; matmul.py:41:21
	s_wait_alu depctr_sa_sdst(0)
	s_and_saveexec_b32 s35, s33
	s_cbranch_execz .LBB0_181
.LBB0_279:
	.loc	1 39 52                         ; matmul.py:39:52
	v_add_co_u32 v99, s33, v97, v32
	s_wait_alu depctr_va_sdst(0)
	v_add_co_ci_u32_e64 v100, null, v98, v33, s33
	.loc	1 41 21                         ; matmul.py:41:21
	global_store_b16 v[99:100], v175, off
	s_wait_alu depctr_sa_sdst(0)
	s_or_b32 exec_lo, exec_lo, s35
	.loc	1 40 39                         ; matmul.py:40:39
	s_and_b32 s33, s31, s16
	.loc	1 41 21                         ; matmul.py:41:21
	s_wait_alu depctr_sa_sdst(0)
	s_and_saveexec_b32 s35, s33
	s_cbranch_execz .LBB0_182
.LBB0_280:
	.loc	1 39 52                         ; matmul.py:39:52
	v_add_co_u32 v99, s33, v97, v34
	s_wait_alu depctr_va_sdst(0)
	v_add_co_ci_u32_e64 v100, null, v98, v35, s33
	.loc	1 41 21                         ; matmul.py:41:21
	global_store_b16 v[99:100], v174, off
	s_wait_alu depctr_sa_sdst(0)
	s_or_b32 exec_lo, exec_lo, s35
	.loc	1 40 39                         ; matmul.py:40:39
	s_and_b32 s33, s31, s17
	.loc	1 41 21                         ; matmul.py:41:21
	s_wait_alu depctr_sa_sdst(0)
	s_and_saveexec_b32 s35, s33
	s_cbranch_execz .LBB0_183
.LBB0_281:
	.loc	1 39 52                         ; matmul.py:39:52
	v_add_co_u32 v99, s33, v97, v36
	s_wait_alu depctr_va_sdst(0)
	v_add_co_ci_u32_e64 v100, null, v98, v37, s33
	.loc	1 41 21                         ; matmul.py:41:21
	global_store_b16 v[99:100], v173, off
	s_wait_alu depctr_sa_sdst(0)
	s_or_b32 exec_lo, exec_lo, s35
	.loc	1 40 39                         ; matmul.py:40:39
	s_and_b32 s33, s31, s18
	.loc	1 41 21                         ; matmul.py:41:21
	s_wait_alu depctr_sa_sdst(0)
	s_and_saveexec_b32 s35, s33
	s_cbranch_execz .LBB0_184
.LBB0_282:
	.loc	1 39 52                         ; matmul.py:39:52
	v_add_co_u32 v99, s33, v97, v38
	s_wait_alu depctr_va_sdst(0)
	v_add_co_ci_u32_e64 v100, null, v98, v39, s33
	.loc	1 41 21                         ; matmul.py:41:21
	global_store_b16 v[99:100], v172, off
	s_wait_alu depctr_sa_sdst(0)
	s_or_b32 exec_lo, exec_lo, s35
	.loc	1 40 39                         ; matmul.py:40:39
	s_and_b32 s33, s31, s19
	.loc	1 41 21                         ; matmul.py:41:21
	s_wait_alu depctr_sa_sdst(0)
	s_and_saveexec_b32 s35, s33
	s_cbranch_execz .LBB0_185
.LBB0_283:
	.loc	1 39 52                         ; matmul.py:39:52
	v_add_co_u32 v99, s33, v97, v40
	s_wait_alu depctr_va_sdst(0)
	v_add_co_ci_u32_e64 v100, null, v98, v41, s33
	.loc	1 41 21                         ; matmul.py:41:21
	global_store_b16 v[99:100], v171, off
	s_wait_alu depctr_sa_sdst(0)
	s_or_b32 exec_lo, exec_lo, s35
	.loc	1 40 39                         ; matmul.py:40:39
	s_and_b32 s33, s31, s20
	.loc	1 41 21                         ; matmul.py:41:21
	s_wait_alu depctr_sa_sdst(0)
	s_and_saveexec_b32 s35, s33
	s_cbranch_execz .LBB0_186
.LBB0_284:
	.loc	1 39 52                         ; matmul.py:39:52
	v_add_co_u32 v99, s33, v97, v42
	s_wait_alu depctr_va_sdst(0)
	v_add_co_ci_u32_e64 v100, null, v98, v43, s33
	.loc	1 41 21                         ; matmul.py:41:21
	global_store_b16 v[99:100], v170, off
	s_wait_alu depctr_sa_sdst(0)
	s_or_b32 exec_lo, exec_lo, s35
	.loc	1 40 39                         ; matmul.py:40:39
	s_and_b32 s33, s31, s21
	.loc	1 41 21                         ; matmul.py:41:21
	s_wait_alu depctr_sa_sdst(0)
	s_and_saveexec_b32 s35, s33
	s_cbranch_execz .LBB0_187
.LBB0_285:
	.loc	1 39 52                         ; matmul.py:39:52
	v_add_co_u32 v99, s33, v97, v44
	s_wait_alu depctr_va_sdst(0)
	v_add_co_ci_u32_e64 v100, null, v98, v45, s33
	.loc	1 41 21                         ; matmul.py:41:21
	global_store_b16 v[99:100], v169, off
	s_wait_alu depctr_sa_sdst(0)
	s_or_b32 exec_lo, exec_lo, s35
	.loc	1 40 39                         ; matmul.py:40:39
	s_and_b32 s33, s31, s22
	.loc	1 41 21                         ; matmul.py:41:21
	s_wait_alu depctr_sa_sdst(0)
	s_and_saveexec_b32 s35, s33
	s_cbranch_execz .LBB0_188
.LBB0_286:
	.loc	1 39 52                         ; matmul.py:39:52
	v_add_co_u32 v99, s33, v97, v46
	s_wait_alu depctr_va_sdst(0)
	v_add_co_ci_u32_e64 v100, null, v98, v47, s33
	.loc	1 41 21                         ; matmul.py:41:21
	global_store_b16 v[99:100], v168, off
	s_wait_alu depctr_sa_sdst(0)
	s_or_b32 exec_lo, exec_lo, s35
	.loc	1 40 39                         ; matmul.py:40:39
	s_and_b32 s33, s31, s23
	.loc	1 41 21                         ; matmul.py:41:21
	s_wait_alu depctr_sa_sdst(0)
	s_and_saveexec_b32 s35, s33
	s_cbranch_execz .LBB0_189
.LBB0_287:
	.loc	1 39 52                         ; matmul.py:39:52
	v_add_co_u32 v99, s33, v97, v48
	s_wait_alu depctr_va_sdst(0)
	v_add_co_ci_u32_e64 v100, null, v98, v49, s33
	.loc	1 41 21                         ; matmul.py:41:21
	global_store_b16 v[99:100], v167, off
	s_wait_alu depctr_sa_sdst(0)
	s_or_b32 exec_lo, exec_lo, s35
	.loc	1 40 39                         ; matmul.py:40:39
	s_and_b32 s33, s31, s24
	.loc	1 41 21                         ; matmul.py:41:21
	s_wait_alu depctr_sa_sdst(0)
	s_and_saveexec_b32 s35, s33
	s_cbranch_execz .LBB0_190
.LBB0_288:
	.loc	1 39 52                         ; matmul.py:39:52
	v_add_co_u32 v99, s33, v97, v50
	s_wait_alu depctr_va_sdst(0)
	v_add_co_ci_u32_e64 v100, null, v98, v51, s33
	.loc	1 41 21                         ; matmul.py:41:21
	global_store_b16 v[99:100], v166, off
	s_wait_alu depctr_sa_sdst(0)
	s_or_b32 exec_lo, exec_lo, s35
	.loc	1 40 39                         ; matmul.py:40:39
	s_and_b32 s33, s31, s25
	.loc	1 41 21                         ; matmul.py:41:21
	s_wait_alu depctr_sa_sdst(0)
	s_and_saveexec_b32 s35, s33
	s_cbranch_execz .LBB0_191
.LBB0_289:
	.loc	1 39 52                         ; matmul.py:39:52
	v_add_co_u32 v99, s33, v97, v52
	s_wait_alu depctr_va_sdst(0)
	v_add_co_ci_u32_e64 v100, null, v98, v53, s33
	.loc	1 41 21                         ; matmul.py:41:21
	global_store_b16 v[99:100], v165, off
	s_wait_alu depctr_sa_sdst(0)
	s_or_b32 exec_lo, exec_lo, s35
	.loc	1 40 39                         ; matmul.py:40:39
	s_and_b32 s33, s31, s26
	.loc	1 41 21                         ; matmul.py:41:21
	s_wait_alu depctr_sa_sdst(0)
	s_and_saveexec_b32 s35, s33
	s_cbranch_execz .LBB0_192
.LBB0_290:
	.loc	1 39 52                         ; matmul.py:39:52
	v_add_co_u32 v99, s33, v97, v54
	s_wait_alu depctr_va_sdst(0)
	v_add_co_ci_u32_e64 v100, null, v98, v55, s33
	.loc	1 41 21                         ; matmul.py:41:21
	global_store_b16 v[99:100], v164, off
	s_wait_alu depctr_sa_sdst(0)
	s_or_b32 exec_lo, exec_lo, s35
	.loc	1 40 39                         ; matmul.py:40:39
	s_and_b32 s33, s31, s27
	.loc	1 41 21                         ; matmul.py:41:21
	s_wait_alu depctr_sa_sdst(0)
	s_and_saveexec_b32 s35, s33
	s_cbranch_execz .LBB0_193
.LBB0_291:
	.loc	1 39 52                         ; matmul.py:39:52
	v_add_co_u32 v99, s33, v97, v56
	s_wait_alu depctr_va_sdst(0)
	v_add_co_ci_u32_e64 v100, null, v98, v57, s33
	.loc	1 41 21                         ; matmul.py:41:21
	global_store_b16 v[99:100], v163, off
	s_wait_alu depctr_sa_sdst(0)
	s_or_b32 exec_lo, exec_lo, s35
	.loc	1 40 39                         ; matmul.py:40:39
	s_and_b32 s33, s31, s28
	.loc	1 41 21                         ; matmul.py:41:21
	s_wait_alu depctr_sa_sdst(0)
	s_and_saveexec_b32 s35, s33
	s_cbranch_execz .LBB0_194
.LBB0_292:
	.loc	1 39 52                         ; matmul.py:39:52
	v_add_co_u32 v99, s33, v97, v58
	s_wait_alu depctr_va_sdst(0)
	v_add_co_ci_u32_e64 v100, null, v98, v59, s33
	.loc	1 41 21                         ; matmul.py:41:21
	global_store_b16 v[99:100], v162, off
	s_wait_alu depctr_sa_sdst(0)
	s_or_b32 exec_lo, exec_lo, s35
	.loc	1 40 39                         ; matmul.py:40:39
	s_and_b32 s33, s31, s29
	.loc	1 41 21                         ; matmul.py:41:21
	s_wait_alu depctr_sa_sdst(0)
	s_and_saveexec_b32 s35, s33
	s_cbranch_execz .LBB0_195
.LBB0_293:
	.loc	1 39 52                         ; matmul.py:39:52
	v_add_co_u32 v99, s33, v97, v60
	s_wait_alu depctr_va_sdst(0)
	v_add_co_ci_u32_e64 v100, null, v98, v61, s33
	.loc	1 41 21                         ; matmul.py:41:21
	global_store_b16 v[99:100], v161, off
	s_wait_alu depctr_sa_sdst(0)
	s_or_b32 exec_lo, exec_lo, s35
	.loc	1 40 39                         ; matmul.py:40:39
	s_and_b32 s31, s31, s30
	.loc	1 41 21                         ; matmul.py:41:21
	s_wait_alu depctr_sa_sdst(0)
	s_and_saveexec_b32 s33, s31
	s_cbranch_execnz .LBB0_196
	s_branch .LBB0_197
.LBB0_294:
	.loc	1 39 52                         ; matmul.py:39:52
	v_add_co_u32 v99, s33, v97, v0
	s_wait_alu depctr_va_sdst(0)
	v_add_co_ci_u32_e64 v100, null, v98, v1, s33
	.loc	1 41 21                         ; matmul.py:41:21
	global_store_b16 v[99:100], v159, off
	s_wait_alu depctr_sa_sdst(0)
	s_or_b32 exec_lo, exec_lo, s35
	.loc	1 40 39                         ; matmul.py:40:39
	s_and_b32 s33, s31, s0
	.loc	1 41 21                         ; matmul.py:41:21
	s_wait_alu depctr_sa_sdst(0)
	s_and_saveexec_b32 s35, s33
	s_cbranch_execz .LBB0_199
.LBB0_295:
	.loc	1 39 52                         ; matmul.py:39:52
	v_add_co_u32 v99, s33, v97, v2
	s_wait_alu depctr_va_sdst(0)
	v_add_co_ci_u32_e64 v100, null, v98, v3, s33
	.loc	1 41 21                         ; matmul.py:41:21
	global_store_b16 v[99:100], v158, off
	s_wait_alu depctr_sa_sdst(0)
	s_or_b32 exec_lo, exec_lo, s35
	.loc	1 40 39                         ; matmul.py:40:39
	s_and_b32 s33, s31, s1
	.loc	1 41 21                         ; matmul.py:41:21
	s_wait_alu depctr_sa_sdst(0)
	s_and_saveexec_b32 s35, s33
	s_cbranch_execz .LBB0_200
.LBB0_296:
	.loc	1 39 52                         ; matmul.py:39:52
	v_add_co_u32 v99, s33, v97, v4
	s_wait_alu depctr_va_sdst(0)
	v_add_co_ci_u32_e64 v100, null, v98, v5, s33
	.loc	1 41 21                         ; matmul.py:41:21
	global_store_b16 v[99:100], v157, off
	s_wait_alu depctr_sa_sdst(0)
	s_or_b32 exec_lo, exec_lo, s35
	.loc	1 40 39                         ; matmul.py:40:39
	s_and_b32 s33, s31, s2
	.loc	1 41 21                         ; matmul.py:41:21
	s_wait_alu depctr_sa_sdst(0)
	s_and_saveexec_b32 s35, s33
	s_cbranch_execz .LBB0_201
.LBB0_297:
	.loc	1 39 52                         ; matmul.py:39:52
	v_add_co_u32 v99, s33, v97, v6
	s_wait_alu depctr_va_sdst(0)
	v_add_co_ci_u32_e64 v100, null, v98, v7, s33
	.loc	1 41 21                         ; matmul.py:41:21
	global_store_b16 v[99:100], v156, off
	s_wait_alu depctr_sa_sdst(0)
	s_or_b32 exec_lo, exec_lo, s35
	.loc	1 40 39                         ; matmul.py:40:39
	s_and_b32 s33, s31, s3
	.loc	1 41 21                         ; matmul.py:41:21
	s_wait_alu depctr_sa_sdst(0)
	s_and_saveexec_b32 s35, s33
	s_cbranch_execz .LBB0_202
.LBB0_298:
	.loc	1 39 52                         ; matmul.py:39:52
	v_add_co_u32 v99, s33, v97, v8
	s_wait_alu depctr_va_sdst(0)
	v_add_co_ci_u32_e64 v100, null, v98, v9, s33
	.loc	1 41 21                         ; matmul.py:41:21
	global_store_b16 v[99:100], v155, off
	s_wait_alu depctr_sa_sdst(0)
	s_or_b32 exec_lo, exec_lo, s35
	.loc	1 40 39                         ; matmul.py:40:39
	s_and_b32 s33, s31, s4
	.loc	1 41 21                         ; matmul.py:41:21
	s_wait_alu depctr_sa_sdst(0)
	s_and_saveexec_b32 s35, s33
	s_cbranch_execz .LBB0_203
.LBB0_299:
	.loc	1 39 52                         ; matmul.py:39:52
	v_add_co_u32 v99, s33, v97, v10
	s_wait_alu depctr_va_sdst(0)
	v_add_co_ci_u32_e64 v100, null, v98, v11, s33
	.loc	1 41 21                         ; matmul.py:41:21
	global_store_b16 v[99:100], v154, off
	s_wait_alu depctr_sa_sdst(0)
	s_or_b32 exec_lo, exec_lo, s35
	.loc	1 40 39                         ; matmul.py:40:39
	s_and_b32 s33, s31, s5
	.loc	1 41 21                         ; matmul.py:41:21
	s_wait_alu depctr_sa_sdst(0)
	s_and_saveexec_b32 s35, s33
	s_cbranch_execz .LBB0_204
.LBB0_300:
	.loc	1 39 52                         ; matmul.py:39:52
	v_add_co_u32 v99, s33, v97, v12
	s_wait_alu depctr_va_sdst(0)
	v_add_co_ci_u32_e64 v100, null, v98, v13, s33
	.loc	1 41 21                         ; matmul.py:41:21
	global_store_b16 v[99:100], v153, off
	s_wait_alu depctr_sa_sdst(0)
	s_or_b32 exec_lo, exec_lo, s35
	.loc	1 40 39                         ; matmul.py:40:39
	s_and_b32 s33, s31, s6
	.loc	1 41 21                         ; matmul.py:41:21
	s_wait_alu depctr_sa_sdst(0)
	s_and_saveexec_b32 s35, s33
	s_cbranch_execz .LBB0_205
.LBB0_301:
	.loc	1 39 52                         ; matmul.py:39:52
	v_add_co_u32 v99, s33, v97, v14
	s_wait_alu depctr_va_sdst(0)
	v_add_co_ci_u32_e64 v100, null, v98, v15, s33
	.loc	1 41 21                         ; matmul.py:41:21
	global_store_b16 v[99:100], v152, off
	s_wait_alu depctr_sa_sdst(0)
	s_or_b32 exec_lo, exec_lo, s35
	.loc	1 40 39                         ; matmul.py:40:39
	s_and_b32 s33, s31, s7
	.loc	1 41 21                         ; matmul.py:41:21
	s_wait_alu depctr_sa_sdst(0)
	s_and_saveexec_b32 s35, s33
	s_cbranch_execz .LBB0_206
.LBB0_302:
	.loc	1 39 52                         ; matmul.py:39:52
	v_add_co_u32 v99, s33, v97, v16
	s_wait_alu depctr_va_sdst(0)
	v_add_co_ci_u32_e64 v100, null, v98, v17, s33
	.loc	1 41 21                         ; matmul.py:41:21
	global_store_b16 v[99:100], v151, off
	s_wait_alu depctr_sa_sdst(0)
	s_or_b32 exec_lo, exec_lo, s35
	.loc	1 40 39                         ; matmul.py:40:39
	s_and_b32 s33, s31, s8
	.loc	1 41 21                         ; matmul.py:41:21
	s_wait_alu depctr_sa_sdst(0)
	s_and_saveexec_b32 s35, s33
	s_cbranch_execz .LBB0_207
.LBB0_303:
	.loc	1 39 52                         ; matmul.py:39:52
	v_add_co_u32 v99, s33, v97, v18
	s_wait_alu depctr_va_sdst(0)
	v_add_co_ci_u32_e64 v100, null, v98, v19, s33
	.loc	1 41 21                         ; matmul.py:41:21
	global_store_b16 v[99:100], v150, off
	s_wait_alu depctr_sa_sdst(0)
	s_or_b32 exec_lo, exec_lo, s35
	.loc	1 40 39                         ; matmul.py:40:39
	s_and_b32 s33, s31, s9
	.loc	1 41 21                         ; matmul.py:41:21
	s_wait_alu depctr_sa_sdst(0)
	s_and_saveexec_b32 s35, s33
	s_cbranch_execz .LBB0_208
.LBB0_304:
	.loc	1 39 52                         ; matmul.py:39:52
	v_add_co_u32 v99, s33, v97, v20
	s_wait_alu depctr_va_sdst(0)
	v_add_co_ci_u32_e64 v100, null, v98, v21, s33
	.loc	1 41 21                         ; matmul.py:41:21
	global_store_b16 v[99:100], v149, off
	s_wait_alu depctr_sa_sdst(0)
	s_or_b32 exec_lo, exec_lo, s35
	.loc	1 40 39                         ; matmul.py:40:39
	s_and_b32 s33, s31, s10
	.loc	1 41 21                         ; matmul.py:41:21
	s_wait_alu depctr_sa_sdst(0)
	s_and_saveexec_b32 s35, s33
	s_cbranch_execz .LBB0_209
.LBB0_305:
	.loc	1 39 52                         ; matmul.py:39:52
	v_add_co_u32 v99, s33, v97, v22
	s_wait_alu depctr_va_sdst(0)
	v_add_co_ci_u32_e64 v100, null, v98, v23, s33
	.loc	1 41 21                         ; matmul.py:41:21
	global_store_b16 v[99:100], v148, off
	s_wait_alu depctr_sa_sdst(0)
	s_or_b32 exec_lo, exec_lo, s35
	.loc	1 40 39                         ; matmul.py:40:39
	s_and_b32 s33, s31, s11
	.loc	1 41 21                         ; matmul.py:41:21
	s_wait_alu depctr_sa_sdst(0)
	s_and_saveexec_b32 s35, s33
	s_cbranch_execz .LBB0_210
.LBB0_306:
	.loc	1 39 52                         ; matmul.py:39:52
	v_add_co_u32 v99, s33, v97, v24
	s_wait_alu depctr_va_sdst(0)
	v_add_co_ci_u32_e64 v100, null, v98, v25, s33
	.loc	1 41 21                         ; matmul.py:41:21
	global_store_b16 v[99:100], v147, off
	s_wait_alu depctr_sa_sdst(0)
	s_or_b32 exec_lo, exec_lo, s35
	.loc	1 40 39                         ; matmul.py:40:39
	s_and_b32 s33, s31, s12
	.loc	1 41 21                         ; matmul.py:41:21
	s_wait_alu depctr_sa_sdst(0)
	s_and_saveexec_b32 s35, s33
	s_cbranch_execz .LBB0_211
.LBB0_307:
	.loc	1 39 52                         ; matmul.py:39:52
	v_add_co_u32 v99, s33, v97, v26
	s_wait_alu depctr_va_sdst(0)
	v_add_co_ci_u32_e64 v100, null, v98, v27, s33
	.loc	1 41 21                         ; matmul.py:41:21
	global_store_b16 v[99:100], v146, off
	s_wait_alu depctr_sa_sdst(0)
	s_or_b32 exec_lo, exec_lo, s35
	.loc	1 40 39                         ; matmul.py:40:39
	s_and_b32 s33, s31, s13
	.loc	1 41 21                         ; matmul.py:41:21
	s_wait_alu depctr_sa_sdst(0)
	s_and_saveexec_b32 s35, s33
	s_cbranch_execz .LBB0_212
.LBB0_308:
	.loc	1 39 52                         ; matmul.py:39:52
	v_add_co_u32 v99, s33, v97, v28
	s_wait_alu depctr_va_sdst(0)
	v_add_co_ci_u32_e64 v100, null, v98, v29, s33
	.loc	1 41 21                         ; matmul.py:41:21
	global_store_b16 v[99:100], v145, off
	s_wait_alu depctr_sa_sdst(0)
	s_or_b32 exec_lo, exec_lo, s35
	.loc	1 40 39                         ; matmul.py:40:39
	s_and_b32 s33, s31, s14
	.loc	1 41 21                         ; matmul.py:41:21
	s_wait_alu depctr_sa_sdst(0)
	s_and_saveexec_b32 s35, s33
	s_cbranch_execz .LBB0_213
.LBB0_309:
	.loc	1 39 52                         ; matmul.py:39:52
	v_add_co_u32 v99, s33, v97, v30
	s_wait_alu depctr_va_sdst(0)
	v_add_co_ci_u32_e64 v100, null, v98, v31, s33
	.loc	1 41 21                         ; matmul.py:41:21
	global_store_b16 v[99:100], v144, off
	s_wait_alu depctr_sa_sdst(0)
	s_or_b32 exec_lo, exec_lo, s35
	.loc	1 40 39                         ; matmul.py:40:39
	s_and_b32 s33, s31, s15
	.loc	1 41 21                         ; matmul.py:41:21
	s_wait_alu depctr_sa_sdst(0)
	s_and_saveexec_b32 s35, s33
	s_cbranch_execz .LBB0_214
.LBB0_310:
	.loc	1 39 52                         ; matmul.py:39:52
	v_add_co_u32 v99, s33, v97, v32
	s_wait_alu depctr_va_sdst(0)
	v_add_co_ci_u32_e64 v100, null, v98, v33, s33
	.loc	1 41 21                         ; matmul.py:41:21
	global_store_b16 v[99:100], v143, off
	s_wait_alu depctr_sa_sdst(0)
	s_or_b32 exec_lo, exec_lo, s35
	.loc	1 40 39                         ; matmul.py:40:39
	s_and_b32 s33, s31, s16
	.loc	1 41 21                         ; matmul.py:41:21
	s_wait_alu depctr_sa_sdst(0)
	s_and_saveexec_b32 s35, s33
	s_cbranch_execz .LBB0_215
.LBB0_311:
	.loc	1 39 52                         ; matmul.py:39:52
	v_add_co_u32 v99, s33, v97, v34
	s_wait_alu depctr_va_sdst(0)
	v_add_co_ci_u32_e64 v100, null, v98, v35, s33
	.loc	1 41 21                         ; matmul.py:41:21
	global_store_b16 v[99:100], v142, off
	s_wait_alu depctr_sa_sdst(0)
	s_or_b32 exec_lo, exec_lo, s35
	.loc	1 40 39                         ; matmul.py:40:39
	s_and_b32 s33, s31, s17
	.loc	1 41 21                         ; matmul.py:41:21
	s_wait_alu depctr_sa_sdst(0)
	s_and_saveexec_b32 s35, s33
	s_cbranch_execz .LBB0_216
.LBB0_312:
	.loc	1 39 52                         ; matmul.py:39:52
	v_add_co_u32 v99, s33, v97, v36
	s_wait_alu depctr_va_sdst(0)
	v_add_co_ci_u32_e64 v100, null, v98, v37, s33
	.loc	1 41 21                         ; matmul.py:41:21
	global_store_b16 v[99:100], v141, off
	s_wait_alu depctr_sa_sdst(0)
	s_or_b32 exec_lo, exec_lo, s35
	.loc	1 40 39                         ; matmul.py:40:39
	s_and_b32 s33, s31, s18
	.loc	1 41 21                         ; matmul.py:41:21
	s_wait_alu depctr_sa_sdst(0)
	s_and_saveexec_b32 s35, s33
	s_cbranch_execz .LBB0_217
.LBB0_313:
	.loc	1 39 52                         ; matmul.py:39:52
	v_add_co_u32 v99, s33, v97, v38
	s_wait_alu depctr_va_sdst(0)
	v_add_co_ci_u32_e64 v100, null, v98, v39, s33
	.loc	1 41 21                         ; matmul.py:41:21
	global_store_b16 v[99:100], v140, off
	s_wait_alu depctr_sa_sdst(0)
	s_or_b32 exec_lo, exec_lo, s35
	.loc	1 40 39                         ; matmul.py:40:39
	s_and_b32 s33, s31, s19
	.loc	1 41 21                         ; matmul.py:41:21
	s_wait_alu depctr_sa_sdst(0)
	s_and_saveexec_b32 s35, s33
	s_cbranch_execz .LBB0_218
.LBB0_314:
	.loc	1 39 52                         ; matmul.py:39:52
	v_add_co_u32 v99, s33, v97, v40
	s_wait_alu depctr_va_sdst(0)
	v_add_co_ci_u32_e64 v100, null, v98, v41, s33
	.loc	1 41 21                         ; matmul.py:41:21
	global_store_b16 v[99:100], v139, off
	s_wait_alu depctr_sa_sdst(0)
	s_or_b32 exec_lo, exec_lo, s35
	.loc	1 40 39                         ; matmul.py:40:39
	s_and_b32 s33, s31, s20
	.loc	1 41 21                         ; matmul.py:41:21
	s_wait_alu depctr_sa_sdst(0)
	s_and_saveexec_b32 s35, s33
	s_cbranch_execz .LBB0_219
.LBB0_315:
	.loc	1 39 52                         ; matmul.py:39:52
	v_add_co_u32 v99, s33, v97, v42
	s_wait_alu depctr_va_sdst(0)
	v_add_co_ci_u32_e64 v100, null, v98, v43, s33
	.loc	1 41 21                         ; matmul.py:41:21
	global_store_b16 v[99:100], v138, off
	s_wait_alu depctr_sa_sdst(0)
	s_or_b32 exec_lo, exec_lo, s35
	.loc	1 40 39                         ; matmul.py:40:39
	s_and_b32 s33, s31, s21
	.loc	1 41 21                         ; matmul.py:41:21
	s_wait_alu depctr_sa_sdst(0)
	s_and_saveexec_b32 s35, s33
	s_cbranch_execz .LBB0_220
.LBB0_316:
	.loc	1 39 52                         ; matmul.py:39:52
	v_add_co_u32 v99, s33, v97, v44
	s_wait_alu depctr_va_sdst(0)
	v_add_co_ci_u32_e64 v100, null, v98, v45, s33
	.loc	1 41 21                         ; matmul.py:41:21
	global_store_b16 v[99:100], v137, off
	s_wait_alu depctr_sa_sdst(0)
	s_or_b32 exec_lo, exec_lo, s35
	.loc	1 40 39                         ; matmul.py:40:39
	s_and_b32 s33, s31, s22
	.loc	1 41 21                         ; matmul.py:41:21
	s_wait_alu depctr_sa_sdst(0)
	s_and_saveexec_b32 s35, s33
	s_cbranch_execz .LBB0_221
.LBB0_317:
	.loc	1 39 52                         ; matmul.py:39:52
	v_add_co_u32 v99, s33, v97, v46
	s_wait_alu depctr_va_sdst(0)
	v_add_co_ci_u32_e64 v100, null, v98, v47, s33
	.loc	1 41 21                         ; matmul.py:41:21
	global_store_b16 v[99:100], v136, off
	s_wait_alu depctr_sa_sdst(0)
	s_or_b32 exec_lo, exec_lo, s35
	.loc	1 40 39                         ; matmul.py:40:39
	s_and_b32 s33, s31, s23
	.loc	1 41 21                         ; matmul.py:41:21
	s_wait_alu depctr_sa_sdst(0)
	s_and_saveexec_b32 s35, s33
	s_cbranch_execz .LBB0_222
.LBB0_318:
	.loc	1 39 52                         ; matmul.py:39:52
	v_add_co_u32 v99, s33, v97, v48
	s_wait_alu depctr_va_sdst(0)
	v_add_co_ci_u32_e64 v100, null, v98, v49, s33
	.loc	1 41 21                         ; matmul.py:41:21
	global_store_b16 v[99:100], v135, off
	s_wait_alu depctr_sa_sdst(0)
	s_or_b32 exec_lo, exec_lo, s35
	.loc	1 40 39                         ; matmul.py:40:39
	s_and_b32 s33, s31, s24
	.loc	1 41 21                         ; matmul.py:41:21
	s_wait_alu depctr_sa_sdst(0)
	s_and_saveexec_b32 s35, s33
	s_cbranch_execz .LBB0_223
.LBB0_319:
	.loc	1 39 52                         ; matmul.py:39:52
	v_add_co_u32 v99, s33, v97, v50
	s_wait_alu depctr_va_sdst(0)
	v_add_co_ci_u32_e64 v100, null, v98, v51, s33
	.loc	1 41 21                         ; matmul.py:41:21
	global_store_b16 v[99:100], v134, off
	s_wait_alu depctr_sa_sdst(0)
	s_or_b32 exec_lo, exec_lo, s35
	.loc	1 40 39                         ; matmul.py:40:39
	s_and_b32 s33, s31, s25
	.loc	1 41 21                         ; matmul.py:41:21
	s_wait_alu depctr_sa_sdst(0)
	s_and_saveexec_b32 s35, s33
	s_cbranch_execz .LBB0_224
.LBB0_320:
	.loc	1 39 52                         ; matmul.py:39:52
	v_add_co_u32 v99, s33, v97, v52
	s_wait_alu depctr_va_sdst(0)
	v_add_co_ci_u32_e64 v100, null, v98, v53, s33
	.loc	1 41 21                         ; matmul.py:41:21
	global_store_b16 v[99:100], v133, off
	s_wait_alu depctr_sa_sdst(0)
	s_or_b32 exec_lo, exec_lo, s35
	.loc	1 40 39                         ; matmul.py:40:39
	s_and_b32 s33, s31, s26
	.loc	1 41 21                         ; matmul.py:41:21
	s_wait_alu depctr_sa_sdst(0)
	s_and_saveexec_b32 s35, s33
	s_cbranch_execz .LBB0_225
.LBB0_321:
	.loc	1 39 52                         ; matmul.py:39:52
	v_add_co_u32 v99, s33, v97, v54
	s_wait_alu depctr_va_sdst(0)
	v_add_co_ci_u32_e64 v100, null, v98, v55, s33
	.loc	1 41 21                         ; matmul.py:41:21
	global_store_b16 v[99:100], v132, off
	s_wait_alu depctr_sa_sdst(0)
	s_or_b32 exec_lo, exec_lo, s35
	.loc	1 40 39                         ; matmul.py:40:39
	s_and_b32 s33, s31, s27
	.loc	1 41 21                         ; matmul.py:41:21
	s_wait_alu depctr_sa_sdst(0)
	s_and_saveexec_b32 s35, s33
	s_cbranch_execz .LBB0_226
.LBB0_322:
	.loc	1 39 52                         ; matmul.py:39:52
	v_add_co_u32 v99, s33, v97, v56
	s_wait_alu depctr_va_sdst(0)
	v_add_co_ci_u32_e64 v100, null, v98, v57, s33
	.loc	1 41 21                         ; matmul.py:41:21
	global_store_b16 v[99:100], v131, off
	s_wait_alu depctr_sa_sdst(0)
	s_or_b32 exec_lo, exec_lo, s35
	.loc	1 40 39                         ; matmul.py:40:39
	s_and_b32 s33, s31, s28
	.loc	1 41 21                         ; matmul.py:41:21
	s_wait_alu depctr_sa_sdst(0)
	s_and_saveexec_b32 s35, s33
	s_cbranch_execz .LBB0_227
.LBB0_323:
	.loc	1 39 52                         ; matmul.py:39:52
	v_add_co_u32 v99, s33, v97, v58
	s_wait_alu depctr_va_sdst(0)
	v_add_co_ci_u32_e64 v100, null, v98, v59, s33
	.loc	1 41 21                         ; matmul.py:41:21
	global_store_b16 v[99:100], v130, off
	s_wait_alu depctr_sa_sdst(0)
	s_or_b32 exec_lo, exec_lo, s35
	.loc	1 40 39                         ; matmul.py:40:39
	s_and_b32 s33, s31, s29
	.loc	1 41 21                         ; matmul.py:41:21
	s_wait_alu depctr_sa_sdst(0)
	s_and_saveexec_b32 s35, s33
	s_cbranch_execz .LBB0_228
.LBB0_324:
	.loc	1 39 52                         ; matmul.py:39:52
	v_add_co_u32 v99, s33, v97, v60
	s_wait_alu depctr_va_sdst(0)
	v_add_co_ci_u32_e64 v100, null, v98, v61, s33
	.loc	1 41 21                         ; matmul.py:41:21
	global_store_b16 v[99:100], v129, off
	s_wait_alu depctr_sa_sdst(0)
	s_or_b32 exec_lo, exec_lo, s35
	.loc	1 40 39                         ; matmul.py:40:39
	s_and_b32 s31, s31, s30
	.loc	1 41 21                         ; matmul.py:41:21
	s_wait_alu depctr_sa_sdst(0)
	s_and_saveexec_b32 s33, s31
	s_cbranch_execnz .LBB0_229
	s_branch .LBB0_230
.LBB0_325:
	.loc	1 39 52                         ; matmul.py:39:52
	v_add_co_u32 v0, vcc_lo, v96, v0
	s_wait_alu depctr_va_vcc(0)
	v_add_co_ci_u32_e64 v1, null, v97, v1, vcc_lo
	.loc	1 41 21                         ; matmul.py:41:21
	global_store_b16 v[0:1], v95, off
	s_wait_alu depctr_sa_sdst(0)
	s_or_b32 exec_lo, exec_lo, s33
	.loc	1 40 39                         ; matmul.py:40:39
	s_and_b32 s33, s31, s0
	.loc	1 41 21                         ; matmul.py:41:21
	s_wait_alu depctr_sa_sdst(0)
	s_and_saveexec_b32 s0, s33
	s_cbranch_execz .LBB0_232
.LBB0_326:
	.loc	1 39 52                         ; matmul.py:39:52
	v_add_co_u32 v0, vcc_lo, v96, v2
	s_wait_alu depctr_va_vcc(0)
	v_add_co_ci_u32_e64 v1, null, v97, v3, vcc_lo
	.loc	1 41 21                         ; matmul.py:41:21
	global_store_b16 v[0:1], v94, off
	s_wait_alu depctr_sa_sdst(0)
	s_or_b32 exec_lo, exec_lo, s0
	.loc	1 40 39                         ; matmul.py:40:39
	s_and_b32 s1, s31, s1
	.loc	1 41 21                         ; matmul.py:41:21
	s_wait_alu depctr_sa_sdst(0)
	s_and_saveexec_b32 s0, s1
	s_cbranch_execz .LBB0_233
.LBB0_327:
	.loc	1 39 52                         ; matmul.py:39:52
	v_add_co_u32 v0, vcc_lo, v96, v4
	s_wait_alu depctr_va_vcc(0)
	v_add_co_ci_u32_e64 v1, null, v97, v5, vcc_lo
	.loc	1 41 21                         ; matmul.py:41:21
	global_store_b16 v[0:1], v93, off
	s_wait_alu depctr_sa_sdst(0)
	s_or_b32 exec_lo, exec_lo, s0
	.loc	1 40 39                         ; matmul.py:40:39
	s_and_b32 s1, s31, s2
	.loc	1 41 21                         ; matmul.py:41:21
	s_wait_alu depctr_sa_sdst(0)
	s_and_saveexec_b32 s0, s1
	s_cbranch_execz .LBB0_234
.LBB0_328:
	.loc	1 39 52                         ; matmul.py:39:52
	v_add_co_u32 v0, vcc_lo, v96, v6
	s_wait_alu depctr_va_vcc(0)
	v_add_co_ci_u32_e64 v1, null, v97, v7, vcc_lo
	.loc	1 41 21                         ; matmul.py:41:21
	global_store_b16 v[0:1], v92, off
	s_wait_alu depctr_sa_sdst(0)
	s_or_b32 exec_lo, exec_lo, s0
	.loc	1 40 39                         ; matmul.py:40:39
	s_and_b32 s1, s31, s3
	.loc	1 41 21                         ; matmul.py:41:21
	s_wait_alu depctr_sa_sdst(0)
	s_and_saveexec_b32 s0, s1
	s_cbranch_execz .LBB0_235
.LBB0_329:
	.loc	1 39 52                         ; matmul.py:39:52
	v_add_co_u32 v0, vcc_lo, v96, v8
	s_wait_alu depctr_va_vcc(0)
	v_add_co_ci_u32_e64 v1, null, v97, v9, vcc_lo
	.loc	1 41 21                         ; matmul.py:41:21
	global_store_b16 v[0:1], v91, off
	s_wait_alu depctr_sa_sdst(0)
	s_or_b32 exec_lo, exec_lo, s0
	.loc	1 40 39                         ; matmul.py:40:39
	s_and_b32 s1, s31, s4
	.loc	1 41 21                         ; matmul.py:41:21
	s_wait_alu depctr_sa_sdst(0)
	s_and_saveexec_b32 s0, s1
	s_cbranch_execz .LBB0_236
.LBB0_330:
	.loc	1 39 52                         ; matmul.py:39:52
	v_add_co_u32 v0, vcc_lo, v96, v10
	s_wait_alu depctr_va_vcc(0)
	v_add_co_ci_u32_e64 v1, null, v97, v11, vcc_lo
	.loc	1 41 21                         ; matmul.py:41:21
	global_store_b16 v[0:1], v90, off
	s_wait_alu depctr_sa_sdst(0)
	s_or_b32 exec_lo, exec_lo, s0
	.loc	1 40 39                         ; matmul.py:40:39
	s_and_b32 s1, s31, s5
	.loc	1 41 21                         ; matmul.py:41:21
	s_wait_alu depctr_sa_sdst(0)
	s_and_saveexec_b32 s0, s1
	s_cbranch_execz .LBB0_237
.LBB0_331:
	.loc	1 39 52                         ; matmul.py:39:52
	v_add_co_u32 v0, vcc_lo, v96, v12
	s_wait_alu depctr_va_vcc(0)
	v_add_co_ci_u32_e64 v1, null, v97, v13, vcc_lo
	.loc	1 41 21                         ; matmul.py:41:21
	global_store_b16 v[0:1], v89, off
	s_wait_alu depctr_sa_sdst(0)
	s_or_b32 exec_lo, exec_lo, s0
	.loc	1 40 39                         ; matmul.py:40:39
	s_and_b32 s1, s31, s6
	.loc	1 41 21                         ; matmul.py:41:21
	s_wait_alu depctr_sa_sdst(0)
	s_and_saveexec_b32 s0, s1
	s_cbranch_execz .LBB0_238
.LBB0_332:
	.loc	1 39 52                         ; matmul.py:39:52
	v_add_co_u32 v0, vcc_lo, v96, v14
	s_wait_alu depctr_va_vcc(0)
	v_add_co_ci_u32_e64 v1, null, v97, v15, vcc_lo
	.loc	1 41 21                         ; matmul.py:41:21
	global_store_b16 v[0:1], v88, off
	s_wait_alu depctr_sa_sdst(0)
	s_or_b32 exec_lo, exec_lo, s0
	.loc	1 40 39                         ; matmul.py:40:39
	s_and_b32 s1, s31, s7
	.loc	1 41 21                         ; matmul.py:41:21
	s_wait_alu depctr_sa_sdst(0)
	s_and_saveexec_b32 s0, s1
	s_cbranch_execz .LBB0_239
.LBB0_333:
	.loc	1 39 52                         ; matmul.py:39:52
	v_add_co_u32 v0, vcc_lo, v96, v16
	s_wait_alu depctr_va_vcc(0)
	v_add_co_ci_u32_e64 v1, null, v97, v17, vcc_lo
	.loc	1 41 21                         ; matmul.py:41:21
	global_store_b16 v[0:1], v87, off
	s_wait_alu depctr_sa_sdst(0)
	s_or_b32 exec_lo, exec_lo, s0
	.loc	1 40 39                         ; matmul.py:40:39
	s_and_b32 s1, s31, s8
	.loc	1 41 21                         ; matmul.py:41:21
	s_wait_alu depctr_sa_sdst(0)
	s_and_saveexec_b32 s0, s1
	s_cbranch_execz .LBB0_240
.LBB0_334:
	.loc	1 39 52                         ; matmul.py:39:52
	v_add_co_u32 v0, vcc_lo, v96, v18
	s_wait_alu depctr_va_vcc(0)
	v_add_co_ci_u32_e64 v1, null, v97, v19, vcc_lo
	.loc	1 41 21                         ; matmul.py:41:21
	global_store_b16 v[0:1], v86, off
	s_wait_alu depctr_sa_sdst(0)
	s_or_b32 exec_lo, exec_lo, s0
	.loc	1 40 39                         ; matmul.py:40:39
	s_and_b32 s1, s31, s9
	.loc	1 41 21                         ; matmul.py:41:21
	s_wait_alu depctr_sa_sdst(0)
	s_and_saveexec_b32 s0, s1
	s_cbranch_execz .LBB0_241
.LBB0_335:
	.loc	1 39 52                         ; matmul.py:39:52
	v_add_co_u32 v0, vcc_lo, v96, v20
	s_wait_alu depctr_va_vcc(0)
	v_add_co_ci_u32_e64 v1, null, v97, v21, vcc_lo
	.loc	1 41 21                         ; matmul.py:41:21
	global_store_b16 v[0:1], v85, off
	s_wait_alu depctr_sa_sdst(0)
	s_or_b32 exec_lo, exec_lo, s0
	.loc	1 40 39                         ; matmul.py:40:39
	s_and_b32 s1, s31, s10
	.loc	1 41 21                         ; matmul.py:41:21
	s_wait_alu depctr_sa_sdst(0)
	s_and_saveexec_b32 s0, s1
	s_cbranch_execz .LBB0_242
.LBB0_336:
	.loc	1 39 52                         ; matmul.py:39:52
	v_add_co_u32 v0, vcc_lo, v96, v22
	s_wait_alu depctr_va_vcc(0)
	v_add_co_ci_u32_e64 v1, null, v97, v23, vcc_lo
	.loc	1 41 21                         ; matmul.py:41:21
	global_store_b16 v[0:1], v84, off
	s_wait_alu depctr_sa_sdst(0)
	s_or_b32 exec_lo, exec_lo, s0
	.loc	1 40 39                         ; matmul.py:40:39
	s_and_b32 s1, s31, s11
	.loc	1 41 21                         ; matmul.py:41:21
	s_wait_alu depctr_sa_sdst(0)
	s_and_saveexec_b32 s0, s1
	s_cbranch_execz .LBB0_243
.LBB0_337:
	.loc	1 39 52                         ; matmul.py:39:52
	v_add_co_u32 v0, vcc_lo, v96, v24
	s_wait_alu depctr_va_vcc(0)
	v_add_co_ci_u32_e64 v1, null, v97, v25, vcc_lo
	.loc	1 41 21                         ; matmul.py:41:21
	global_store_b16 v[0:1], v83, off
	s_wait_alu depctr_sa_sdst(0)
	s_or_b32 exec_lo, exec_lo, s0
	.loc	1 40 39                         ; matmul.py:40:39
	s_and_b32 s1, s31, s12
	.loc	1 41 21                         ; matmul.py:41:21
	s_wait_alu depctr_sa_sdst(0)
	s_and_saveexec_b32 s0, s1
	s_cbranch_execz .LBB0_244
.LBB0_338:
	.loc	1 39 52                         ; matmul.py:39:52
	v_add_co_u32 v0, vcc_lo, v96, v26
	s_wait_alu depctr_va_vcc(0)
	v_add_co_ci_u32_e64 v1, null, v97, v27, vcc_lo
	.loc	1 41 21                         ; matmul.py:41:21
	global_store_b16 v[0:1], v82, off
	s_wait_alu depctr_sa_sdst(0)
	s_or_b32 exec_lo, exec_lo, s0
	.loc	1 40 39                         ; matmul.py:40:39
	s_and_b32 s1, s31, s13
	.loc	1 41 21                         ; matmul.py:41:21
	s_wait_alu depctr_sa_sdst(0)
	s_and_saveexec_b32 s0, s1
	s_cbranch_execz .LBB0_245
.LBB0_339:
	.loc	1 39 52                         ; matmul.py:39:52
	v_add_co_u32 v0, vcc_lo, v96, v28
	s_wait_alu depctr_va_vcc(0)
	v_add_co_ci_u32_e64 v1, null, v97, v29, vcc_lo
	.loc	1 41 21                         ; matmul.py:41:21
	global_store_b16 v[0:1], v81, off
	s_wait_alu depctr_sa_sdst(0)
	s_or_b32 exec_lo, exec_lo, s0
	.loc	1 40 39                         ; matmul.py:40:39
	s_and_b32 s1, s31, s14
	.loc	1 41 21                         ; matmul.py:41:21
	s_wait_alu depctr_sa_sdst(0)
	s_and_saveexec_b32 s0, s1
	s_cbranch_execz .LBB0_246
.LBB0_340:
	.loc	1 39 52                         ; matmul.py:39:52
	v_add_co_u32 v0, vcc_lo, v96, v30
	s_wait_alu depctr_va_vcc(0)
	v_add_co_ci_u32_e64 v1, null, v97, v31, vcc_lo
	.loc	1 41 21                         ; matmul.py:41:21
	global_store_b16 v[0:1], v80, off
	s_wait_alu depctr_sa_sdst(0)
	s_or_b32 exec_lo, exec_lo, s0
	.loc	1 40 39                         ; matmul.py:40:39
	s_and_b32 s1, s31, s15
	.loc	1 41 21                         ; matmul.py:41:21
	s_wait_alu depctr_sa_sdst(0)
	s_and_saveexec_b32 s0, s1
	s_cbranch_execz .LBB0_247
.LBB0_341:
	.loc	1 39 52                         ; matmul.py:39:52
	v_add_co_u32 v0, vcc_lo, v96, v32
	s_wait_alu depctr_va_vcc(0)
	v_add_co_ci_u32_e64 v1, null, v97, v33, vcc_lo
	.loc	1 41 21                         ; matmul.py:41:21
	global_store_b16 v[0:1], v79, off
	s_wait_alu depctr_sa_sdst(0)
	s_or_b32 exec_lo, exec_lo, s0
	.loc	1 40 39                         ; matmul.py:40:39
	s_and_b32 s1, s31, s16
	.loc	1 41 21                         ; matmul.py:41:21
	s_wait_alu depctr_sa_sdst(0)
	s_and_saveexec_b32 s0, s1
	s_cbranch_execz .LBB0_248
.LBB0_342:
	.loc	1 39 52                         ; matmul.py:39:52
	v_add_co_u32 v0, vcc_lo, v96, v34
	s_wait_alu depctr_va_vcc(0)
	v_add_co_ci_u32_e64 v1, null, v97, v35, vcc_lo
	.loc	1 41 21                         ; matmul.py:41:21
	global_store_b16 v[0:1], v78, off
	s_wait_alu depctr_sa_sdst(0)
	s_or_b32 exec_lo, exec_lo, s0
	.loc	1 40 39                         ; matmul.py:40:39
	s_and_b32 s1, s31, s17
	.loc	1 41 21                         ; matmul.py:41:21
	s_wait_alu depctr_sa_sdst(0)
	s_and_saveexec_b32 s0, s1
	s_cbranch_execz .LBB0_249
.LBB0_343:
	.loc	1 39 52                         ; matmul.py:39:52
	v_add_co_u32 v0, vcc_lo, v96, v36
	s_wait_alu depctr_va_vcc(0)
	v_add_co_ci_u32_e64 v1, null, v97, v37, vcc_lo
	.loc	1 41 21                         ; matmul.py:41:21
	global_store_b16 v[0:1], v77, off
	s_wait_alu depctr_sa_sdst(0)
	s_or_b32 exec_lo, exec_lo, s0
	.loc	1 40 39                         ; matmul.py:40:39
	s_and_b32 s1, s31, s18
	.loc	1 41 21                         ; matmul.py:41:21
	s_wait_alu depctr_sa_sdst(0)
	s_and_saveexec_b32 s0, s1
	s_cbranch_execz .LBB0_250
.LBB0_344:
	.loc	1 39 52                         ; matmul.py:39:52
	v_add_co_u32 v0, vcc_lo, v96, v38
	s_wait_alu depctr_va_vcc(0)
	v_add_co_ci_u32_e64 v1, null, v97, v39, vcc_lo
	.loc	1 41 21                         ; matmul.py:41:21
	global_store_b16 v[0:1], v76, off
	s_wait_alu depctr_sa_sdst(0)
	s_or_b32 exec_lo, exec_lo, s0
	.loc	1 40 39                         ; matmul.py:40:39
	s_and_b32 s1, s31, s19
	.loc	1 41 21                         ; matmul.py:41:21
	s_wait_alu depctr_sa_sdst(0)
	s_and_saveexec_b32 s0, s1
	s_cbranch_execz .LBB0_251
.LBB0_345:
	.loc	1 39 52                         ; matmul.py:39:52
	v_add_co_u32 v0, vcc_lo, v96, v40
	s_wait_alu depctr_va_vcc(0)
	v_add_co_ci_u32_e64 v1, null, v97, v41, vcc_lo
	.loc	1 41 21                         ; matmul.py:41:21
	global_store_b16 v[0:1], v75, off
	s_wait_alu depctr_sa_sdst(0)
	s_or_b32 exec_lo, exec_lo, s0
	.loc	1 40 39                         ; matmul.py:40:39
	s_and_b32 s1, s31, s20
	.loc	1 41 21                         ; matmul.py:41:21
	s_wait_alu depctr_sa_sdst(0)
	s_and_saveexec_b32 s0, s1
	s_cbranch_execz .LBB0_252
.LBB0_346:
	.loc	1 39 52                         ; matmul.py:39:52
	v_add_co_u32 v0, vcc_lo, v96, v42
	s_wait_alu depctr_va_vcc(0)
	v_add_co_ci_u32_e64 v1, null, v97, v43, vcc_lo
	.loc	1 41 21                         ; matmul.py:41:21
	global_store_b16 v[0:1], v74, off
	s_wait_alu depctr_sa_sdst(0)
	s_or_b32 exec_lo, exec_lo, s0
	.loc	1 40 39                         ; matmul.py:40:39
	s_and_b32 s1, s31, s21
	.loc	1 41 21                         ; matmul.py:41:21
	s_wait_alu depctr_sa_sdst(0)
	s_and_saveexec_b32 s0, s1
	s_cbranch_execz .LBB0_253
.LBB0_347:
	.loc	1 39 52                         ; matmul.py:39:52
	v_add_co_u32 v0, vcc_lo, v96, v44
	s_wait_alu depctr_va_vcc(0)
	v_add_co_ci_u32_e64 v1, null, v97, v45, vcc_lo
	.loc	1 41 21                         ; matmul.py:41:21
	global_store_b16 v[0:1], v73, off
	s_wait_alu depctr_sa_sdst(0)
	s_or_b32 exec_lo, exec_lo, s0
	.loc	1 40 39                         ; matmul.py:40:39
	s_and_b32 s1, s31, s22
	.loc	1 41 21                         ; matmul.py:41:21
	s_wait_alu depctr_sa_sdst(0)
	s_and_saveexec_b32 s0, s1
	s_cbranch_execz .LBB0_254
.LBB0_348:
	.loc	1 39 52                         ; matmul.py:39:52
	v_add_co_u32 v0, vcc_lo, v96, v46
	s_wait_alu depctr_va_vcc(0)
	v_add_co_ci_u32_e64 v1, null, v97, v47, vcc_lo
	.loc	1 41 21                         ; matmul.py:41:21
	global_store_b16 v[0:1], v72, off
	s_wait_alu depctr_sa_sdst(0)
	s_or_b32 exec_lo, exec_lo, s0
	.loc	1 40 39                         ; matmul.py:40:39
	s_and_b32 s1, s31, s23
	.loc	1 41 21                         ; matmul.py:41:21
	s_wait_alu depctr_sa_sdst(0)
	s_and_saveexec_b32 s0, s1
	s_cbranch_execz .LBB0_255
.LBB0_349:
	.loc	1 39 52                         ; matmul.py:39:52
	v_add_co_u32 v0, vcc_lo, v96, v48
	s_wait_alu depctr_va_vcc(0)
	v_add_co_ci_u32_e64 v1, null, v97, v49, vcc_lo
	.loc	1 41 21                         ; matmul.py:41:21
	global_store_b16 v[0:1], v71, off
	s_wait_alu depctr_sa_sdst(0)
	s_or_b32 exec_lo, exec_lo, s0
	.loc	1 40 39                         ; matmul.py:40:39
	s_and_b32 s1, s31, s24
	.loc	1 41 21                         ; matmul.py:41:21
	s_wait_alu depctr_sa_sdst(0)
	s_and_saveexec_b32 s0, s1
	s_cbranch_execz .LBB0_256
.LBB0_350:
	.loc	1 39 52                         ; matmul.py:39:52
	v_add_co_u32 v0, vcc_lo, v96, v50
	s_wait_alu depctr_va_vcc(0)
	v_add_co_ci_u32_e64 v1, null, v97, v51, vcc_lo
	.loc	1 41 21                         ; matmul.py:41:21
	global_store_b16 v[0:1], v70, off
	s_wait_alu depctr_sa_sdst(0)
	s_or_b32 exec_lo, exec_lo, s0
	.loc	1 40 39                         ; matmul.py:40:39
	s_and_b32 s1, s31, s25
	.loc	1 41 21                         ; matmul.py:41:21
	s_wait_alu depctr_sa_sdst(0)
	s_and_saveexec_b32 s0, s1
	s_cbranch_execz .LBB0_257
.LBB0_351:
	.loc	1 39 52                         ; matmul.py:39:52
	v_add_co_u32 v0, vcc_lo, v96, v52
	s_wait_alu depctr_va_vcc(0)
	v_add_co_ci_u32_e64 v1, null, v97, v53, vcc_lo
	.loc	1 41 21                         ; matmul.py:41:21
	global_store_b16 v[0:1], v69, off
	s_wait_alu depctr_sa_sdst(0)
	s_or_b32 exec_lo, exec_lo, s0
	.loc	1 40 39                         ; matmul.py:40:39
	s_and_b32 s1, s31, s26
	.loc	1 41 21                         ; matmul.py:41:21
	s_wait_alu depctr_sa_sdst(0)
	s_and_saveexec_b32 s0, s1
	s_cbranch_execz .LBB0_258
.LBB0_352:
	.loc	1 39 52                         ; matmul.py:39:52
	v_add_co_u32 v0, vcc_lo, v96, v54
	s_wait_alu depctr_va_vcc(0)
	v_add_co_ci_u32_e64 v1, null, v97, v55, vcc_lo
	.loc	1 41 21                         ; matmul.py:41:21
	global_store_b16 v[0:1], v68, off
	s_wait_alu depctr_sa_sdst(0)
	s_or_b32 exec_lo, exec_lo, s0
	.loc	1 40 39                         ; matmul.py:40:39
	s_and_b32 s1, s31, s27
	.loc	1 41 21                         ; matmul.py:41:21
	s_wait_alu depctr_sa_sdst(0)
	s_and_saveexec_b32 s0, s1
	s_cbranch_execz .LBB0_259
.LBB0_353:
	.loc	1 39 52                         ; matmul.py:39:52
	v_add_co_u32 v0, vcc_lo, v96, v56
	s_wait_alu depctr_va_vcc(0)
	v_add_co_ci_u32_e64 v1, null, v97, v57, vcc_lo
	.loc	1 41 21                         ; matmul.py:41:21
	global_store_b16 v[0:1], v67, off
	s_wait_alu depctr_sa_sdst(0)
	s_or_b32 exec_lo, exec_lo, s0
	.loc	1 40 39                         ; matmul.py:40:39
	s_and_b32 s1, s31, s28
	.loc	1 41 21                         ; matmul.py:41:21
	s_wait_alu depctr_sa_sdst(0)
	s_and_saveexec_b32 s0, s1
	s_cbranch_execz .LBB0_260
.LBB0_354:
	.loc	1 39 52                         ; matmul.py:39:52
	v_add_co_u32 v0, vcc_lo, v96, v58
	s_wait_alu depctr_va_vcc(0)
	v_add_co_ci_u32_e64 v1, null, v97, v59, vcc_lo
	.loc	1 41 21                         ; matmul.py:41:21
	global_store_b16 v[0:1], v66, off
	s_wait_alu depctr_sa_sdst(0)
	s_or_b32 exec_lo, exec_lo, s0
	.loc	1 40 39                         ; matmul.py:40:39
	s_and_b32 s1, s31, s29
	.loc	1 41 21                         ; matmul.py:41:21
	s_wait_alu depctr_sa_sdst(0)
	s_and_saveexec_b32 s0, s1
	s_cbranch_execz .LBB0_261
.LBB0_355:
	.loc	1 39 52                         ; matmul.py:39:52
	v_add_co_u32 v0, vcc_lo, v96, v60
	s_wait_alu depctr_va_vcc(0)
	v_add_co_ci_u32_e64 v1, null, v97, v61, vcc_lo
	.loc	1 41 21                         ; matmul.py:41:21
	global_store_b16 v[0:1], v65, off
	s_wait_alu depctr_sa_sdst(0)
	s_or_b32 exec_lo, exec_lo, s0
	.loc	1 40 39                         ; matmul.py:40:39
	s_and_b32 s0, s31, s30
	.loc	1 41 21                         ; matmul.py:41:21
	s_wait_alu depctr_sa_sdst(0)
	s_and_saveexec_b32 s1, s0
	s_cbranch_execz .LBB0_262
.LBB0_356:
	.loc	1 39 52                         ; matmul.py:39:52
	v_add_co_u32 v0, vcc_lo, v96, v62
	s_wait_alu depctr_va_vcc(0)
	v_add_co_ci_u32_e64 v1, null, v97, v63, vcc_lo
	.loc	1 41 21                         ; matmul.py:41:21
	global_store_b16 v[0:1], v64, off
	.loc	1 41 4 is_stmt 0                ; matmul.py:41:4
	s_nop 0
	s_sendmsg sendmsg(MSG_DEALLOC_VGPRS)
	s_endpgm
.Ltmp22:
	.section	.rodata,"a",@progbits
	.p2align	6, 0x0
	.amdhsa_kernel matmul_kernel
		.amdhsa_group_segment_fixed_size 0
		.amdhsa_private_segment_fixed_size 148
		.amdhsa_kernarg_size 80
		.amdhsa_user_sgpr_count 2
		.amdhsa_user_sgpr_dispatch_ptr 0
		.amdhsa_user_sgpr_queue_ptr 0
		.amdhsa_user_sgpr_kernarg_segment_ptr 1
		.amdhsa_user_sgpr_dispatch_id 0
		.amdhsa_user_sgpr_private_segment_size 0
		.amdhsa_wavefront_size32 1
		.amdhsa_uses_dynamic_stack 0
		.amdhsa_enable_private_segment 1
		.amdhsa_system_sgpr_workgroup_id_x 1
		.amdhsa_system_sgpr_workgroup_id_y 1
		.amdhsa_system_sgpr_workgroup_id_z 1
		.amdhsa_system_sgpr_workgroup_info 0
		.amdhsa_system_vgpr_workitem_id 0
		.amdhsa_next_free_vgpr 256
		.amdhsa_next_free_sgpr 64
		.amdhsa_reserve_vcc 1
		.amdhsa_float_round_mode_32 0
		.amdhsa_float_round_mode_16_64 0
		.amdhsa_float_denorm_mode_32 3
		.amdhsa_float_denorm_mode_16_64 3
		.amdhsa_fp16_overflow 0
		.amdhsa_workgroup_processor_mode 1
		.amdhsa_memory_ordered 1
		.amdhsa_forward_progress 1
		.amdhsa_inst_pref_size 168
		.amdhsa_round_robin_scheduling 0
		.amdhsa_exception_fp_ieee_invalid_op 0
		.amdhsa_exception_fp_denorm_src 0
		.amdhsa_exception_fp_ieee_div_zero 0
		.amdhsa_exception_fp_ieee_overflow 0
		.amdhsa_exception_fp_ieee_underflow 0
		.amdhsa_exception_fp_ieee_inexact 0
		.amdhsa_exception_int_div_zero 0
	.end_amdhsa_kernel
	.text
.Lfunc_end0:
	.size	matmul_kernel, .Lfunc_end0-matmul_kernel
	.cfi_endproc
                                        ; -- End function
	.set matmul_kernel.num_vgpr, 256
	.set matmul_kernel.num_agpr, 0
	.set matmul_kernel.numbered_sgpr, 64
	.set matmul_kernel.num_named_barrier, 0
	.set matmul_kernel.private_seg_size, 148
	.set matmul_kernel.uses_vcc, 1
	.set matmul_kernel.uses_flat_scratch, 1
	.set matmul_kernel.has_dyn_sized_stack, 0
	.set matmul_kernel.has_recursion, 0
	.set matmul_kernel.has_indirect_call, 0
	.section	.AMDGPU.csdata,"",@progbits
; Kernel info:
; codeLenInByte = 21392
; TotalNumSgprs: 66
; NumVgprs: 256
; ScratchSize: 148
; MemoryBound: 0
; FloatMode: 240
; IeeeMode: 1
; LDSByteSize: 0 bytes/workgroup (compile time only)
; SGPRBlocks: 0
; VGPRBlocks: 31
; NumSGPRsForWavesPerEU: 66
; NumVGPRsForWavesPerEU: 256
; Occupancy: 5
; WaveLimiterHint : 0
; COMPUTE_PGM_RSRC2:SCRATCH_EN: 1
; COMPUTE_PGM_RSRC2:USER_SGPR: 2
; COMPUTE_PGM_RSRC2:TRAP_HANDLER: 0
; COMPUTE_PGM_RSRC2:TGID_X_EN: 1
; COMPUTE_PGM_RSRC2:TGID_Y_EN: 1
; COMPUTE_PGM_RSRC2:TGID_Z_EN: 1
; COMPUTE_PGM_RSRC2:TIDIG_COMP_CNT: 0
	.text
	.p2alignl 7, 3214868480
	.fill 96, 4, 3214868480
	.section	.AMDGPU.gpr_maximums,"",@progbits
	.set amdgpu.max_num_vgpr, 0
	.set amdgpu.max_num_agpr, 0
	.set amdgpu.max_num_sgpr, 0
	.set amdgpu.max_num_named_barrier, 0
	.text
	.section	.debug_abbrev,"",@progbits
	.byte	1                               ; Abbreviation Code
	.byte	17                              ; DW_TAG_compile_unit
	.byte	1                               ; DW_CHILDREN_yes
	.byte	37                              ; DW_AT_producer
	.byte	14                              ; DW_FORM_strp
	.byte	19                              ; DW_AT_language
	.byte	5                               ; DW_FORM_data2
	.byte	3                               ; DW_AT_name
	.byte	14                              ; DW_FORM_strp
	.byte	16                              ; DW_AT_stmt_list
	.byte	23                              ; DW_FORM_sec_offset
	.byte	27                              ; DW_AT_comp_dir
	.byte	14                              ; DW_FORM_strp
	.byte	17                              ; DW_AT_low_pc
	.byte	1                               ; DW_FORM_addr
	.byte	18                              ; DW_AT_high_pc
	.byte	6                               ; DW_FORM_data4
	.byte	0                               ; EOM(1)
	.byte	0                               ; EOM(2)
	.byte	2                               ; Abbreviation Code
	.byte	46                              ; DW_TAG_subprogram
	.byte	0                               ; DW_CHILDREN_no
	.byte	3                               ; DW_AT_name
	.byte	14                              ; DW_FORM_strp
	.byte	32                              ; DW_AT_inline
	.byte	11                              ; DW_FORM_data1
	.byte	0                               ; EOM(1)
	.byte	0                               ; EOM(2)
	.byte	3                               ; Abbreviation Code
	.byte	46                              ; DW_TAG_subprogram
	.byte	1                               ; DW_CHILDREN_yes
	.byte	17                              ; DW_AT_low_pc
	.byte	1                               ; DW_FORM_addr
	.byte	18                              ; DW_AT_high_pc
	.byte	6                               ; DW_FORM_data4
	.byte	49                              ; DW_AT_abstract_origin
	.byte	19                              ; DW_FORM_ref4
	.byte	0                               ; EOM(1)
	.byte	0                               ; EOM(2)
	.byte	4                               ; Abbreviation Code
	.byte	29                              ; DW_TAG_inlined_subroutine
	.byte	0                               ; DW_CHILDREN_no
	.byte	49                              ; DW_AT_abstract_origin
	.byte	19                              ; DW_FORM_ref4
	.byte	85                              ; DW_AT_ranges
	.byte	23                              ; DW_FORM_sec_offset
	.byte	88                              ; DW_AT_call_file
	.byte	11                              ; DW_FORM_data1
	.byte	89                              ; DW_AT_call_line
	.byte	11                              ; DW_FORM_data1
	.byte	87                              ; DW_AT_call_column
	.byte	11                              ; DW_FORM_data1
	.byte	0                               ; EOM(1)
	.byte	0                               ; EOM(2)
	;; [unrolled: 1-line block ×3, first 2 shown]
	.section	.debug_info,"",@progbits
.Lcu_begin0:
	.long	.Ldebug_info_end0-.Ldebug_info_start0 ; Length of Unit
.Ldebug_info_start0:
	.short	4                               ; DWARF version number
	.long	.debug_abbrev                   ; Offset Into Abbrev. Section
	.byte	8                               ; Address Size (in bytes)
	.byte	1                               ; Abbrev [1] 0xb:0x5c DW_TAG_compile_unit
	.long	.Linfo_string0                  ; DW_AT_producer
	.short	2                               ; DW_AT_language
	.long	.Linfo_string1                  ; DW_AT_name
	.long	.Lline_table_start0             ; DW_AT_stmt_list
	.long	.Linfo_string2                  ; DW_AT_comp_dir
	.quad	.Lfunc_begin0                   ; DW_AT_low_pc
	.long	.Lfunc_end0-.Lfunc_begin0       ; DW_AT_high_pc
	.byte	2                               ; Abbrev [2] 0x2a:0x6 DW_TAG_subprogram
	.long	.Linfo_string3                  ; DW_AT_name
	.byte	1                               ; DW_AT_inline
	.byte	3                               ; Abbrev [3] 0x30:0x36 DW_TAG_subprogram
	.quad	.Lfunc_begin0                   ; DW_AT_low_pc
	.long	.Lfunc_end0-.Lfunc_begin0       ; DW_AT_high_pc
	.long	42                              ; DW_AT_abstract_origin
	.byte	4                               ; Abbrev [4] 0x41:0xc DW_TAG_inlined_subroutine
	.long	42                              ; DW_AT_abstract_origin
	.long	.Ldebug_ranges0                 ; DW_AT_ranges
	.byte	1                               ; DW_AT_call_file
	.byte	14                              ; DW_AT_call_line
	.byte	27                              ; DW_AT_call_column
	.byte	4                               ; Abbrev [4] 0x4d:0xc DW_TAG_inlined_subroutine
	.long	42                              ; DW_AT_abstract_origin
	.long	.Ldebug_ranges1                 ; DW_AT_ranges
	.byte	1                               ; DW_AT_call_file
	.byte	13                              ; DW_AT_call_line
	.byte	27                              ; DW_AT_call_column
	;; [unrolled: 6-line block ×3, first 2 shown]
	.byte	0                               ; End Of Children Mark
	.byte	0                               ; End Of Children Mark
.Ldebug_info_end0:
	.section	.debug_ranges,"",@progbits
.Ldebug_ranges0:
	.quad	.Ltmp1-.Lfunc_begin0
	.quad	.Ltmp2-.Lfunc_begin0
	.quad	.Ltmp3-.Lfunc_begin0
	.quad	.Ltmp4-.Lfunc_begin0
	.quad	.Ltmp5-.Lfunc_begin0
	.quad	.Ltmp6-.Lfunc_begin0
	.quad	.Ltmp7-.Lfunc_begin0
	.quad	.Ltmp8-.Lfunc_begin0
	.quad	.Ltmp9-.Lfunc_begin0
	.quad	.Ltmp10-.Lfunc_begin0
	.quad	0
	.quad	0
.Ldebug_ranges1:
	.quad	.Ltmp2-.Lfunc_begin0
	.quad	.Ltmp3-.Lfunc_begin0
	;; [unrolled: 1-line block ×10, first 2 shown]
	.quad	0
	.quad	0
.Ldebug_ranges2:
	.quad	.Ltmp12-.Lfunc_begin0
	.quad	.Ltmp13-.Lfunc_begin0
	;; [unrolled: 1-line block ×10, first 2 shown]
	.quad	0
	.quad	0
	.section	.debug_str,"MS",@progbits,1
.Linfo_string0:
	.asciz	"triton"                        ; string offset=0
.Linfo_string1:
	.asciz	"matmul.py"                     ; string offset=7
.Linfo_string2:
	.asciz	"/root/src/amdgpu-assembly/repos/triton-lang__triton-aot" ; string offset=17
.Linfo_string3:
	.asciz	"matmul_kernel"                 ; string offset=73
	.section	".note.GNU-stack","",@progbits
	.amdgpu_metadata
---
amdhsa.kernels:
  - .args:
      - .address_space:  global
        .offset:         0
        .size:           8
        .value_kind:     global_buffer
      - .address_space:  global
        .offset:         8
        .size:           8
        .value_kind:     global_buffer
      - .address_space:  global
        .offset:         16
        .size:           8
        .value_kind:     global_buffer
      - .offset:         24
        .size:           4
        .value_kind:     by_value
      - .offset:         28
        .size:           4
        .value_kind:     by_value
      - .offset:         32
        .size:           4
        .value_kind:     by_value
      - .offset:         36
        .size:           4
        .value_kind:     by_value
      - .offset:         40
        .size:           4
        .value_kind:     by_value
      - .offset:         44
        .size:           4
        .value_kind:     by_value
      - .offset:         48
        .size:           4
        .value_kind:     by_value
      - .offset:         52
        .size:           4
        .value_kind:     by_value
      - .offset:         56
        .size:           4
        .value_kind:     by_value
      - .address_space:  global
        .offset:         64
        .size:           8
        .value_kind:     global_buffer
      - .address_space:  global
        .offset:         72
        .size:           8
        .value_kind:     global_buffer
    .group_segment_fixed_size: 0
    .kernarg_segment_align: 8
    .kernarg_segment_size: 80
    .max_flat_workgroup_size: 256
    .name:           matmul_kernel
    .private_segment_fixed_size: 148
    .sgpr_count:     66
    .sgpr_spill_count: 0
    .symbol:         matmul_kernel.kd
    .uniform_work_group_size: 1
    .uses_dynamic_stack: false
    .vgpr_count:     256
    .vgpr_spill_count: 36
    .wavefront_size: 32
    .workgroup_processor_mode: 1
amdhsa.target:   amdgcn-amd-amdhsa--gfx1201
amdhsa.version:
  - 1
  - 2
...

	.end_amdgpu_metadata
	.section	.debug_line,"",@progbits
.Lline_table_start0:
